;; amdgpu-corpus repo=ROCm/aiter kind=harvested arch=n/a opt=n/a

/root/src/amdgpu-assembly/repos/ROCm__aiter/hsa/gfx950/fmoe_2stages/fmoe_stage1_bf16_pertokenFp8_g1u1_16x512_2tg_pf2.co:	file format elf64-amdgpu

Disassembly of section .text:

0000000000002a00 <_ZN5aiter48fmoe_stage1_bf16_pertokenFp8_g1u1_16x512_2tg_pf2E>:
	s_and_b32 s1, s1, 0xffff                                   // 000000002A00: 8601FF01 0000FFFF
	s_load_dwordx2 s[8:9], s[0:1], 0x0                         // 000000002A08: C0060200 00000000
	s_load_dwordx2 s[20:21], s[0:1], 0x10                      // 000000002A10: C0060500 00000010
	s_load_dwordx2 s[24:25], s[0:1], 0x20                      // 000000002A18: C0060600 00000020
	s_load_dwordx2 s[48:49], s[0:1], 0x30                      // 000000002A20: C0060C00 00000030
	s_load_dwordx2 s[28:29], s[0:1], 0x40                      // 000000002A28: C0060700 00000040
	s_load_dwordx2 s[32:33], s[0:1], 0x50                      // 000000002A30: C0060800 00000050
	s_load_dwordx2 s[36:37], s[0:1], 0x60                      // 000000002A38: C0060900 00000060
	s_load_dwordx2 s[12:13], s[0:1], 0x70                      // 000000002A40: C0060300 00000070
	s_load_dwordx2 s[44:45], s[0:1], 0x80                      // 000000002A48: C0060B00 00000080
	s_mov_b32 s89, 0                                           // 000000002A50: BED90080
	s_load_dword s64, s[0:1], 0x90                             // 000000002A54: C0021000 00000090
	s_load_dword s65, s[0:1], 0xa0                             // 000000002A5C: C0021040 000000A0
	s_load_dword s66, s[0:1], 0xb0                             // 000000002A64: C0021080 000000B0
	s_load_dword s67, s[0:1], 0xc0                             // 000000002A6C: C00210C0 000000C0
	s_load_dword s68, s[0:1], 0xd0                             // 000000002A74: C0021100 000000D0
	s_load_dword s69, s[0:1], 0xe0                             // 000000002A7C: C0021140 000000E0
	s_load_dword s71, s[0:1], 0xf0                             // 000000002A84: C00211C0 000000F0
	s_load_dword s72, s[0:1], 0x100                            // 000000002A8C: C0021200 00000100
	s_load_dword s74, s[0:1], 0x110                            // 000000002A94: C0021280 00000110
	s_load_dword s76, s[0:1], 0x120                            // 000000002A9C: C0021300 00000120
	s_load_dword s56, s[0:1], 0x130                            // 000000002AA4: C0020E00 00000130
	s_load_dword s88, s[0:1], 0x140                            // 000000002AAC: C0021600 00000140
	s_load_dword s89, s[0:1], 0x150                            // 000000002AB4: C0021640 00000150
	v_lshrrev_b32_e32 v1, 10, v0                               // 000000002ABC: 2002008A
	v_lshrrev_b32_e32 v2, 10, v1                               // 000000002AC0: 2004028A
	v_and_b32_e32 v2, 0x3ff, v2                                // 000000002AC4: 260404FF 000003FF
	v_and_b32_e32 v1, 0x3ff, v1                                // 000000002ACC: 260202FF 000003FF
	v_and_b32_e32 v0, 0x3ff, v0                                // 000000002AD4: 260000FF 000003FF
	v_lshrrev_b32_e32 v3, 6, v0                                // 000000002ADC: 20060086
	v_and_b32_e32 v0, 63, v0                                   // 000000002AE0: 260000BF
	s_mov_b32 s2, s2                                           // 000000002AE4: BE820002
	s_mov_b32 s3, s3                                           // 000000002AE8: BE830003
	s_mov_b32 s4, s4                                           // 000000002AEC: BE840004
	v_readfirstlane_b32 s7, v3                                 // 000000002AF0: 7E0E0503
	s_waitcnt lgkmcnt(0)                                       // 000000002AF4: BF8CC07F
	s_and_b32 s49, s49, 0xffff                                 // 000000002AF8: 8631FF31 0000FFFF
	s_load_dword s48, s[48:49], 0x0                            // 000000002B00: C0020C18 00000000
	s_and_b32 s45, s45, 0xffff                                 // 000000002B08: 862DFF2D 0000FFFF
	s_and_b32 s9, s9, 0xffff                                   // 000000002B10: 8609FF09 0000FFFF
	s_mul_i32 s60, s66, s68                                    // 000000002B18: 923C4442
	s_mul_i32 s61, s66, 4                                      // 000000002B1C: 923D8442
	s_mov_b32 s22, s60                                         // 000000002B20: BE96003C
	s_mov_b32 s26, -16                                         // 000000002B24: BE9A00D0
	s_mov_b32 s30, s61                                         // 000000002B28: BE9E003D
	s_mov_b32 s14, 64                                          // 000000002B2C: BE8E00C0
	s_mov_b32 s38, -16                                         // 000000002B30: BEA600D0
	s_mov_b32 s10, -16                                         // 000000002B34: BE8A00D0
	s_mov_b32 s34, 0x800                                       // 000000002B38: BEA200FF 00000800
	s_mov_b32 s23, 0x20000                                     // 000000002B40: BE9700FF 00020000
	s_mov_b32 s27, 0x20000                                     // 000000002B48: BE9B00FF 00020000
	s_mov_b32 s31, 0x20000                                     // 000000002B50: BE9F00FF 00020000
	s_mov_b32 s35, 0x20000                                     // 000000002B58: BEA300FF 00020000
	s_mov_b32 s15, 0x20000                                     // 000000002B60: BE8F00FF 00020000
	s_mov_b32 s39, 0x20000                                     // 000000002B68: BEA700FF 00020000
	s_mov_b32 s11, 0x20000                                     // 000000002B70: BE8B00FF 00020000
	s_and_b32 s21, s21, 0xffff                                 // 000000002B78: 8615FF15 0000FFFF
	s_and_b32 s25, s25, 0xffff                                 // 000000002B80: 8619FF19 0000FFFF
	s_and_b32 s29, s29, 0xffff                                 // 000000002B88: 861DFF1D 0000FFFF
	s_and_b32 s33, s33, 0xffff                                 // 000000002B90: 8621FF21 0000FFFF
	s_and_b32 s13, s13, 0xffff                                 // 000000002B98: 860DFF0D 0000FFFF
	s_and_b32 s37, s37, 0xffff                                 // 000000002BA0: 8625FF25 0000FFFF
	s_or_b32 s21, s21, 0x40000                                 // 000000002BA8: 8715FF15 00040000
	s_or_b32 s25, s25, 0x40000                                 // 000000002BB0: 8719FF19 00040000
	s_or_b32 s29, s29, 0x40000                                 // 000000002BB8: 871DFF1D 00040000
	s_or_b32 s33, s33, 0x40000                                 // 000000002BC0: 8721FF21 00040000
	s_or_b32 s13, s13, 0x40000                                 // 000000002BC8: 870DFF0D 00040000
	s_or_b32 s37, s37, 0x40000                                 // 000000002BD0: 8725FF25 00040000
	v_accvgpr_write_b32 a143, 0                                // 000000002BD8: D3D9408F 18000080
	v_mov_b32_e32 v107, 0                                      // 000000002BE0: 7ED60280
	s_waitcnt lgkmcnt(0)                                       // 000000002BE4: BF8CC07F
	s_mul_i32 s60, s3, 16                                      // 000000002BE8: 923C9003
	s_cmp_lt_i32 s60, s48                                      // 000000002BEC: BF04303C
	s_cbranch_scc0 label_12E8                                  // 000000002BF0: BF841268
	s_mov_b32 s80, 0                                           // 000000002BF4: BED00080
	s_lshr_b32 s81, s64, s88                                   // 000000002BF8: 8F515840
	s_mul_i32 s60, s3, 4                                       // 000000002BFC: 923C8403
	s_add_u32 s44, s60, s44                                    // 000000002C00: 802C2C3C
	s_addc_u32 s45, 0, s45                                     // 000000002C04: 822D2D80
	s_load_dword s5, s[44:45], 0x0                             // 000000002C08: C0020156 00000000
	s_mul_i32 s60, s3, 16                                      // 000000002C10: 923C9003
	s_mul_i32 s60, 4, s60                                      // 000000002C14: 923C3C84
	s_add_u32 s12, s60, s12                                    // 000000002C18: 800C0C3C
	s_addc_u32 s13, 0, s13                                     // 000000002C1C: 820D0D80
	v_and_b32_e32 v4, 15, v0                                   // 000000002C20: 2608008F
	v_lshlrev_b32_e32 v4, 2, v4                                // 000000002C24: 24080882
	buffer_load_dword v29, v4, s[12:15], 0 offen               // 000000002C28: E0501000 80031D04
	v_add_u32_e32 v4, 64, v4                                   // 000000002C30: 680808C0
	s_mul_i32 s60, 4, s7                                       // 000000002C34: 923C0784
	v_lshlrev_b32_e32 v4, 4, v0                                // 000000002C38: 24080084
	v_add_u32_e32 v4, s60, v4                                  // 000000002C3C: 6808083C
	buffer_load_dword v3, v4, s[12:15], 0 offen                // 000000002C40: E0501000 80030304
	v_mov_b32_e32 v44, 0                                       // 000000002C48: 7E580280
	v_mov_b32_e32 v76, 0                                       // 000000002C4C: 7E980280
	v_mov_b32_e32 v45, 0                                       // 000000002C50: 7E5A0280
	v_mov_b32_e32 v77, 0                                       // 000000002C54: 7E9A0280
	v_mov_b32_e32 v46, 0                                       // 000000002C58: 7E5C0280
	v_mov_b32_e32 v78, 0                                       // 000000002C5C: 7E9C0280
	v_mov_b32_e32 v47, 0                                       // 000000002C60: 7E5E0280
	v_mov_b32_e32 v79, 0                                       // 000000002C64: 7E9E0280
	v_mov_b32_e32 v48, 0                                       // 000000002C68: 7E600280
	v_mov_b32_e32 v80, 0                                       // 000000002C6C: 7EA00280
	v_mov_b32_e32 v49, 0                                       // 000000002C70: 7E620280
	v_mov_b32_e32 v81, 0                                       // 000000002C74: 7EA20280
	v_mov_b32_e32 v50, 0                                       // 000000002C78: 7E640280
	v_mov_b32_e32 v82, 0                                       // 000000002C7C: 7EA40280
	v_mov_b32_e32 v51, 0                                       // 000000002C80: 7E660280
	v_mov_b32_e32 v83, 0                                       // 000000002C84: 7EA60280
	v_mov_b32_e32 v52, 0                                       // 000000002C88: 7E680280
	v_mov_b32_e32 v84, 0                                       // 000000002C8C: 7EA80280
	v_mov_b32_e32 v53, 0                                       // 000000002C90: 7E6A0280
	v_mov_b32_e32 v85, 0                                       // 000000002C94: 7EAA0280
	v_mov_b32_e32 v54, 0                                       // 000000002C98: 7E6C0280
	v_mov_b32_e32 v86, 0                                       // 000000002C9C: 7EAC0280
	v_mov_b32_e32 v55, 0                                       // 000000002CA0: 7E6E0280
	v_mov_b32_e32 v87, 0                                       // 000000002CA4: 7EAE0280
	v_mov_b32_e32 v56, 0                                       // 000000002CA8: 7E700280
	v_mov_b32_e32 v88, 0                                       // 000000002CAC: 7EB00280
	v_mov_b32_e32 v57, 0                                       // 000000002CB0: 7E720280
	v_mov_b32_e32 v89, 0                                       // 000000002CB4: 7EB20280
	v_mov_b32_e32 v58, 0                                       // 000000002CB8: 7E740280
	v_mov_b32_e32 v90, 0                                       // 000000002CBC: 7EB40280
	v_mov_b32_e32 v59, 0                                       // 000000002CC0: 7E760280
	v_mov_b32_e32 v91, 0                                       // 000000002CC4: 7EB60280
	v_mov_b32_e32 v60, 0                                       // 000000002CC8: 7E780280
	v_mov_b32_e32 v92, 0                                       // 000000002CCC: 7EB80280
	v_mov_b32_e32 v61, 0                                       // 000000002CD0: 7E7A0280
	v_mov_b32_e32 v93, 0                                       // 000000002CD4: 7EBA0280
	v_mov_b32_e32 v62, 0                                       // 000000002CD8: 7E7C0280
	v_mov_b32_e32 v94, 0                                       // 000000002CDC: 7EBC0280
	v_mov_b32_e32 v63, 0                                       // 000000002CE0: 7E7E0280
	v_mov_b32_e32 v95, 0                                       // 000000002CE4: 7EBE0280
	v_mov_b32_e32 v64, 0                                       // 000000002CE8: 7E800280
	v_mov_b32_e32 v96, 0                                       // 000000002CEC: 7EC00280
	v_mov_b32_e32 v65, 0                                       // 000000002CF0: 7E820280
	v_mov_b32_e32 v97, 0                                       // 000000002CF4: 7EC20280
	v_mov_b32_e32 v66, 0                                       // 000000002CF8: 7E840280
	v_mov_b32_e32 v98, 0                                       // 000000002CFC: 7EC40280
	v_mov_b32_e32 v67, 0                                       // 000000002D00: 7E860280
	v_mov_b32_e32 v99, 0                                       // 000000002D04: 7EC60280
	v_mov_b32_e32 v68, 0                                       // 000000002D08: 7E880280
	v_mov_b32_e32 v100, 0                                      // 000000002D0C: 7EC80280
	v_mov_b32_e32 v69, 0                                       // 000000002D10: 7E8A0280
	v_mov_b32_e32 v101, 0                                      // 000000002D14: 7ECA0280
	v_mov_b32_e32 v70, 0                                       // 000000002D18: 7E8C0280
	v_mov_b32_e32 v102, 0                                      // 000000002D1C: 7ECC0280
	v_mov_b32_e32 v71, 0                                       // 000000002D20: 7E8E0280
	v_mov_b32_e32 v103, 0                                      // 000000002D24: 7ECE0280
	v_mov_b32_e32 v72, 0                                       // 000000002D28: 7E900280
	v_mov_b32_e32 v104, 0                                      // 000000002D2C: 7ED00280
	v_mov_b32_e32 v73, 0                                       // 000000002D30: 7E920280
	v_mov_b32_e32 v105, 0                                      // 000000002D34: 7ED20280
	v_mov_b32_e32 v74, 0                                       // 000000002D38: 7E940280
	v_mov_b32_e32 v106, 0                                      // 000000002D3C: 7ED40280
	v_mov_b32_e32 v75, 0                                       // 000000002D40: 7E960280
	v_mov_b32_e32 v107, 0                                      // 000000002D44: 7ED60280
	s_mul_i32 s60, s2, 0x400                                   // 000000002D48: 923CFF02 00000400
	s_cmp_eq_u32 s88, 0                                        // 000000002D50: BF068058
	s_cselect_b32 s61, 1, 2                                    // 000000002D54: 853D8281
	s_mul_i32 s60, s60, s61                                    // 000000002D58: 923C3D3C
	s_mov_b32 s90, s8                                          // 000000002D5C: BEDA0008
	s_mov_b32 s91, s9                                          // 000000002D60: BEDB0009
	s_add_u32 s8, s60, s8                                      // 000000002D64: 8008083C
	s_addc_u32 s9, 0, s9                                       // 000000002D68: 82090980
	v_lshrrev_b32_e32 v4, 4, v0                                // 000000002D6C: 20080084
	v_mul_lo_u32 v20, 34, v4                                   // 000000002D70: D2850014 000208A2
	v_and_b32_e32 v4, 15, v0                                   // 000000002D78: 2608008F
	v_mul_lo_u32 v5, 2, v4                                     // 000000002D7C: D2850005 00020882
	v_add_u32_e32 v20, v5, v20                                 // 000000002D84: 68282905
	s_mul_i32 s60, s7, 0x88                                    // 000000002D88: 923CFF07 00000088
	v_add_u32_e32 v20, s60, v20                                // 000000002D90: 6828283C
	v_lshlrev_b32_e32 v20, 2, v20                              // 000000002D94: 24282882
	v_and_b32_e32 v4, 31, v0                                   // 000000002D98: 2608009F
	v_lshrrev_b32_e32 v4, 1, v4                                // 000000002D9C: 20080881
	v_mul_lo_u32 v21, 34, v4                                   // 000000002DA0: D2850015 000208A2
	v_lshrrev_b32_e32 v4, 5, v0                                // 000000002DA8: 20080085
	v_mul_lo_u32 v4, 8, v4                                     // 000000002DAC: D2850004 00020888
	v_add_u32_e32 v21, v21, v4                                 // 000000002DB4: 682A0915
	v_and_b32_e32 v5, 1, v0                                    // 000000002DB8: 260A0081
	v_add_u32_e32 v21, v5, v21                                 // 000000002DBC: 682A2B05
	s_mul_i32 s60, s7, 2                                       // 000000002DC0: 923C8207
	v_add_u32_e32 v21, s60, v21                                // 000000002DC4: 682A2A3C
	v_lshlrev_b32_e32 v21, 2, v21                              // 000000002DC8: 242A2A82
	s_mul_i32 s60, s7, 0x220                                   // 000000002DCC: 923CFF07 00000220
	s_add_u32 s48, 0, s60                                      // 000000002DD4: 80303C80
	s_add_u32 s49, 0x880, s48                                  // 000000002DD8: 803130FF 00000880
	v_lshrrev_b32_e32 v4, 4, v0                                // 000000002DE0: 20080084
	v_lshlrev_b32_e32 v5, 2, v4                                // 000000002DE4: 240A0882
	v_and_b32_e32 v4, 15, v0                                   // 000000002DE8: 2608008F
	v_lshrrev_b32_e32 v6, 2, v4                                // 000000002DEC: 200C0882
	v_lshlrev_b32_e32 v6, 5, v6                                // 000000002DF0: 240C0C85
	v_add_u32_e32 v5, v6, v5                                   // 000000002DF4: 680A0B06
	v_and_b32_e32 v4, 3, v0                                    // 000000002DF8: 26080083
	v_mul_u32_u24_e32 v6, 0x88, v4                             // 000000002DFC: 100C08FF 00000088
	v_add_u32_e32 v5, v6, v5                                   // 000000002E04: 680A0B06
	v_lshlrev_b32_e32 v2, 2, v5                                // 000000002E08: 24040A82
	s_waitcnt lgkmcnt(0)                                       // 000000002E0C: BF8CC07F
	s_mul_i32 s60, s2, 0x200                                   // 000000002E10: 923CFF02 00000200
	s_mul_i32 s60, s60, s69                                    // 000000002E18: 923C453C
	s_mul_i32 s61, s5, s72                                     // 000000002E1C: 923D4805
	s_add_u32 s60, s61, s60                                    // 000000002E20: 803C3C3D
	s_add_u32 s24, s60, s24                                    // 000000002E24: 8018183C
	s_addc_u32 s25, 0, s25                                     // 000000002E28: 82191980
	s_lshr_b32 s60, s64, s88                                   // 000000002E2C: 8F3C5840
	s_mul_i32 s60, s4, s60                                     // 000000002E30: 923C3C04
	s_lshr_b32 s60, s60, 7                                     // 000000002E34: 8F3C873C
	s_mul_i32 s60, s60, 0x800                                  // 000000002E38: 923CFF3C 00000800
	s_add_u32 s24, s60, s24                                    // 000000002E40: 8018183C
	s_addc_u32 s25, 0, s25                                     // 000000002E44: 82191980
	s_lshr_b32 s60, s69, s88                                   // 000000002E48: 8F3C5845
	s_mul_i32 s60, s4, s60                                     // 000000002E4C: 923C3C04
	s_add_u32 s20, s60, s20                                    // 000000002E50: 8014143C
	s_addc_u32 s21, 0, s21                                     // 000000002E54: 82151580
	s_mul_i32 s60, s7, 16                                      // 000000002E58: 923C9007
	s_mul_i32 s60, s60, s69                                    // 000000002E5C: 923C453C
	v_lshlrev_b32_e32 v35, 4, v0                               // 000000002E60: 24460084
	v_add_u32_e32 v35, s60, v35                                // 000000002E64: 6846463C
	s_mul_i32 s60, 64, s69                                     // 000000002E68: 923C45C0
	v_add_u32_e32 v36, s60, v35                                // 000000002E6C: 6848463C
	v_add_u32_e32 v37, s60, v36                                // 000000002E70: 684A483C
	v_add_u32_e32 v38, s60, v37                                // 000000002E74: 684C4A3C
	v_add_u32_e32 v39, s60, v38                                // 000000002E78: 684E4C3C
	v_add_u32_e32 v40, s60, v39                                // 000000002E7C: 68504E3C
	v_add_u32_e32 v41, s60, v40                                // 000000002E80: 6852503C
	v_add_u32_e32 v42, s60, v41                                // 000000002E84: 6854523C
	s_mov_b32 s84, s24                                         // 000000002E88: BED40018
	s_mov_b32 s85, s25                                         // 000000002E8C: BED50019
	s_mov_b32 s86, s26                                         // 000000002E90: BED6001A
	s_mov_b32 s87, s27                                         // 000000002E94: BED7001B
	s_mul_i32 s60, s69, s65                                    // 000000002E98: 923C4145
	s_add_u32 s84, s60, s84                                    // 000000002E9C: 8054543C
	s_addc_u32 s85, 0, s85                                     // 000000002EA0: 82555580
	v_lshrrev_b32_e32 v4, 4, v0                                // 000000002EA4: 20080084
	v_lshlrev_b32_e32 v5, 2, v4                                // 000000002EA8: 240A0882
	v_and_b32_e32 v4, 15, v0                                   // 000000002EAC: 2608008F
	v_lshrrev_b32_e32 v6, 2, v4                                // 000000002EB0: 200C0882
	v_lshlrev_b32_e32 v6, 6, v6                                // 000000002EB4: 240C0C86
	v_add_u32_e32 v5, v6, v5                                   // 000000002EB8: 680A0B06
	v_and_b32_e32 v4, 3, v0                                    // 000000002EBC: 26080083
	v_add_u32_e32 v5, v4, v5                                   // 000000002EC0: 680A0B04
	v_lshlrev_b32_e32 v22, 2, v5                               // 000000002EC4: 242C0A82
	v_add_u32_e32 v23, 0x400, v22                              // 000000002EC8: 682E2CFF 00000400
	s_mul_i32 s60, s7, 16                                      // 000000002ED0: 923C9007
	s_mul_i32 s60, s60, 4                                      // 000000002ED4: 923C843C
	v_add_u32_e32 v22, s60, v22                                // 000000002ED8: 682C2C3C
	v_add_u32_e32 v23, s60, v23                                // 000000002EDC: 682E2E3C
	s_mul_i32 s60, s2, 0x200                                   // 000000002EE0: 923CFF02 00000200
	s_mul_i32 s60, s60, 4                                      // 000000002EE8: 923C843C
	s_mul_i32 s61, s5, s74                                     // 000000002EEC: 923D4A05
	s_add_u32 s61, s61, s60                                    // 000000002EF0: 803D3C3D
	s_add_u32 s32, s61, s32                                    // 000000002EF4: 8020203D
	s_addc_u32 s33, 0, s33                                     // 000000002EF8: 82212180
	s_mov_b32 s57, 0x80                                        // 000000002EFC: BEB900FF 00000080
	s_mov_b32 s58, 0x800                                       // 000000002F04: BEBA00FF 00000800
	s_mov_b32 s83, s58                                         // 000000002F0C: BED3003A
	s_mov_b32 s52, 0x7060302                                   // 000000002F10: BEB400FF 07060302
	s_mov_b32 s53, 0x400                                       // 000000002F18: BEB500FF 00000400
	s_mov_b32 s54, 0x40100                                     // 000000002F20: BEB600FF 00040100
	s_mov_b32 s55, 0x4020100                                   // 000000002F28: BEB700FF 04020100
	s_mov_b32 s6, 0x3fb8aa3b                                   // 000000002F30: BE8600FF 3FB8AA3B
	s_mov_b32 s78, 0xbd92220c                                  // 000000002F38: BECE00FF BD92220C
	s_mov_b32 s79, 0xbd92220c                                  // 000000002F40: BECF00FF BD92220C
	s_mov_b32 m0, s48                                          // 000000002F48: BEFC0030
	v_mov_b32_e32 v1, 0xbfcc4231                               // 000000002F4C: 7E0202FF BFCC4231
	v_mov_b32_e32 v17, 0xffff0000                              // 000000002F54: 7E2202FF FFFF0000
	v_mov_b32_e32 v18, 0x7fff0000                              // 000000002F5C: 7E2402FF 7FFF0000
	v_mov_b32_e32 v19, 0x7fff                                  // 000000002F64: 7E2602FF 00007FFF
	s_waitcnt vmcnt(0) expcnt(0) lgkmcnt(0)                    // 000000002F6C: BF8C0000
	v_lshrrev_b32_e32 v4, 5, v0                                // 000000002F70: 20080085
	v_xor_b32_e32 v5, 1, v4                                    // 000000002F74: 2A0A0881
	v_readlane_b32 s82, v3, 0                                  // 000000002F78: D2890052 00010103
	s_and_b32 s82, s82, 0xffffff                               // 000000002F80: 8652FF52 00FFFFFF
	v_mul_lo_u32 v6, v5, s82                                   // 000000002F88: D2850006 0000A505
	v_readlane_b32 s82, v3, 1                                  // 000000002F90: D2890052 00010303
	s_and_b32 s82, s82, 0xffffff                               // 000000002F98: 8652FF52 00FFFFFF
	v_mul_lo_u32 v7, v4, s82                                   // 000000002FA0: D2850007 0000A504
	v_add_u32_e32 v33, v6, v7                                  // 000000002FA8: 68420F06
	v_mul_lo_u32 v33, v33, s68                                 // 000000002FAC: D2850021 00008921
	v_readlane_b32 s82, v3, 2                                  // 000000002FB4: D2890052 00010503
	s_and_b32 s82, s82, 0xffffff                               // 000000002FBC: 8652FF52 00FFFFFF
	v_mul_lo_u32 v6, v5, s82                                   // 000000002FC4: D2850006 0000A505
	v_readlane_b32 s82, v3, 3                                  // 000000002FCC: D2890052 00010703
	s_and_b32 s82, s82, 0xffffff                               // 000000002FD4: 8652FF52 00FFFFFF
	v_mul_lo_u32 v7, v4, s82                                   // 000000002FDC: D2850007 0000A504
	v_add_u32_e32 v34, v6, v7                                  // 000000002FE4: 68440F06
	v_mul_lo_u32 v34, v34, s68                                 // 000000002FE8: D2850022 00008922
	v_and_b32_e32 v4, 31, v0                                   // 000000002FF0: 2608009F
	v_lshlrev_b32_e32 v4, 2, v4                                // 000000002FF4: 24080882
	v_add_u32_e32 v33, v33, v4                                 // 000000002FF8: 68420921
	v_add_u32_e32 v34, v34, v4                                 // 000000002FFC: 68440922
	v_and_b32_e32 v29, 0xffffff, v29                           // 000000003000: 263A3AFF 00FFFFFF
	v_lshlrev_b32_e32 v29, 2, v29                              // 000000003008: 243A3A82
	s_lshl_b32 s3, s66, 2                                      // 00000000300C: 8E038242
	buffer_load_dword v30, v29, s[28:31], 0 offen              // 000000003010: E0501000 80071E1D
	buffer_load_dword v25, v22, s[32:35], 0 offen              // 000000003018: E0501000 80081916
	buffer_load_dword v26, v23, s[32:35], 0 offen              // 000000003020: E0501000 80081A17
	s_mul_i32 s60, 4, s65                                      // 000000003028: 923C4184
	s_add_u32 s32, s60, s32                                    // 00000000302C: 8020203C
	s_addc_u32 s33, 0, s33                                     // 000000003030: 82212180
	buffer_load_dword v27, v22, s[32:35], 0 offen              // 000000003034: E0501000 80081B16
	buffer_load_dword v28, v23, s[32:35], 0 offen              // 00000000303C: E0501000 80081C17
	buffer_load_dword v33, s[20:23], 0 offen lds               // 000000003044: E0511000 80050021
	s_add_u32 m0, 0x100, s48                                   // 00000000304C: 807C30FF 00000100
	buffer_load_dword v34, s[20:23], 0 offen lds               // 000000003054: E0511000 80050022
	s_add_u32 m0, 0, s49                                       // 00000000305C: 807C3180
	s_add_u32 s20, s57, s20                                    // 000000003060: 80141439
	s_addc_u32 s21, 0, s21                                     // 000000003064: 82151580
	buffer_load_dword v33, s[20:23], 0 offen lds               // 000000003068: E0511000 80050021
	s_add_u32 m0, 0x100, s49                                   // 000000003070: 807C31FF 00000100
	buffer_load_dword v34, s[20:23], 0 offen lds               // 000000003078: E0511000 80050022
	s_add_u32 m0, 0, s48                                       // 000000003080: 807C3080
	s_add_u32 s20, s57, s20                                    // 000000003084: 80141439
	s_addc_u32 s21, 0, s21                                     // 000000003088: 82151580
	buffer_load_dwordx4 a[16:19], v35, s[24:27], 0 offen       // 00000000308C: E05C1000 80861023
	buffer_load_dwordx4 a[20:23], v35, s[24:27], 0 offen offset:1024// 000000003094: E05C1400 80861423
	buffer_load_dwordx4 a[24:27], v36, s[24:27], 0 offen       // 00000000309C: E05C1000 80861824
	buffer_load_dwordx4 a[28:31], v36, s[24:27], 0 offen offset:1024// 0000000030A4: E05C1400 80861C24
	buffer_load_dwordx4 a[32:35], v37, s[24:27], 0 offen       // 0000000030AC: E05C1000 80862025
	buffer_load_dwordx4 a[36:39], v37, s[24:27], 0 offen offset:1024// 0000000030B4: E05C1400 80862425
	buffer_load_dwordx4 a[40:43], v38, s[24:27], 0 offen       // 0000000030BC: E05C1000 80862826
	buffer_load_dwordx4 a[44:47], v38, s[24:27], 0 offen offset:1024// 0000000030C4: E05C1400 80862C26
	buffer_load_dwordx4 a[48:51], v39, s[24:27], 0 offen       // 0000000030CC: E05C1000 80863027
	buffer_load_dwordx4 a[52:55], v39, s[24:27], 0 offen offset:1024// 0000000030D4: E05C1400 80863427
	buffer_load_dwordx4 a[56:59], v40, s[24:27], 0 offen       // 0000000030DC: E05C1000 80863828
	buffer_load_dwordx4 a[60:63], v40, s[24:27], 0 offen offset:1024// 0000000030E4: E05C1400 80863C28
	buffer_load_dwordx4 a[64:67], v41, s[24:27], 0 offen       // 0000000030EC: E05C1000 80864029
	buffer_load_dwordx4 a[68:71], v41, s[24:27], 0 offen offset:1024// 0000000030F4: E05C1400 80864429
	buffer_load_dwordx4 a[72:75], v42, s[24:27], 0 offen       // 0000000030FC: E05C1000 8086482A
	buffer_load_dwordx4 a[76:79], v42, s[24:27], 0 offen offset:1024// 000000003104: E05C1400 80864C2A
	s_add_u32 s24, s58, s24                                    // 00000000310C: 8018183A
	s_addc_u32 s25, 0, s25                                     // 000000003110: 82191980
	s_waitcnt vmcnt(18)                                        // 000000003114: BF8C4F72
	s_barrier                                                  // 000000003118: BF8A0000
	ds_read_b128 a[0:3], v2                                    // 00000000311C: DBFE0000 00000002
	ds_read_b128 a[4:7], v2 offset:64                          // 000000003124: DBFE0040 04000002
	s_cmp_lt_i32 s7, 2                                         // 00000000312C: BF048207
	s_cbranch_scc0 label_0A5C                                  // 000000003130: BF84088C

0000000000003134 <label_01CD>:
	s_waitcnt vmcnt(14) lgkmcnt(0)                             // 000000003134: BF8C007E
	s_barrier                                                  // 000000003138: BF8A0000
	v_mfma_f32_16x16x32_fp8_fp8 v[44:47], a[16:17], a[0:1], v[44:47]// 00000000313C: D3F3002C 1CB20110
	v_mfma_f32_16x16x32_fp8_fp8 v[44:47], a[18:19], a[2:3], v[44:47]// 000000003144: D3F3002C 1CB20512
	buffer_load_dwordx4 a[80:83], v35, s[84:87], 0 offen       // 00000000314C: E05C1000 80955023
	v_mfma_f32_16x16x32_fp8_fp8 v[44:47], a[20:21], a[4:5], v[44:47]// 000000003154: D3F3002C 1CB20914
	v_mfma_f32_16x16x32_fp8_fp8 v[44:47], a[22:23], a[6:7], v[44:47]// 00000000315C: D3F3002C 1CB20D16
	s_waitcnt vmcnt(13)                                        // 000000003164: BF8C0F7D
	v_mfma_f32_16x16x32_fp8_fp8 v[48:51], a[24:25], a[0:1], v[48:51]// 000000003168: D3F30030 1CC20118
	v_mfma_f32_16x16x32_fp8_fp8 v[48:51], a[26:27], a[2:3], v[48:51]// 000000003170: D3F30030 1CC2051A
	buffer_load_dwordx4 a[84:87], v35, s[84:87], 0 offen offset:1024// 000000003178: E05C1400 80955423
	v_mfma_f32_16x16x32_fp8_fp8 v[48:51], a[28:29], a[4:5], v[48:51]// 000000003180: D3F30030 1CC2091C
	v_mfma_f32_16x16x32_fp8_fp8 v[48:51], a[30:31], a[6:7], v[48:51]// 000000003188: D3F30030 1CC20D1E
	s_waitcnt vmcnt(12)                                        // 000000003190: BF8C0F7C
	v_mfma_f32_16x16x32_fp8_fp8 v[52:55], a[32:33], a[0:1], v[52:55]// 000000003194: D3F30034 1CD20120
	v_mfma_f32_16x16x32_fp8_fp8 v[52:55], a[34:35], a[2:3], v[52:55]// 00000000319C: D3F30034 1CD20522
	buffer_load_dwordx4 a[88:91], v36, s[84:87], 0 offen       // 0000000031A4: E05C1000 80955824
	v_mfma_f32_16x16x32_fp8_fp8 v[52:55], a[36:37], a[4:5], v[52:55]// 0000000031AC: D3F30034 1CD20924
	v_mfma_f32_16x16x32_fp8_fp8 v[52:55], a[38:39], a[6:7], v[52:55]// 0000000031B4: D3F30034 1CD20D26
	s_waitcnt vmcnt(11)                                        // 0000000031BC: BF8C0F7B
	v_mfma_f32_16x16x32_fp8_fp8 v[56:59], a[40:41], a[0:1], v[56:59]// 0000000031C0: D3F30038 1CE20128
	v_mfma_f32_16x16x32_fp8_fp8 v[56:59], a[42:43], a[2:3], v[56:59]// 0000000031C8: D3F30038 1CE2052A
	buffer_load_dwordx4 a[92:95], v36, s[84:87], 0 offen offset:1024// 0000000031D0: E05C1400 80955C24
	v_mfma_f32_16x16x32_fp8_fp8 v[56:59], a[44:45], a[4:5], v[56:59]// 0000000031D8: D3F30038 1CE2092C
	v_mfma_f32_16x16x32_fp8_fp8 v[56:59], a[46:47], a[6:7], v[56:59]// 0000000031E0: D3F30038 1CE20D2E
	s_waitcnt vmcnt(10)                                        // 0000000031E8: BF8C0F7A
	v_mfma_f32_16x16x32_fp8_fp8 v[60:63], a[48:49], a[0:1], v[60:63]// 0000000031EC: D3F3003C 1CF20130
	v_mfma_f32_16x16x32_fp8_fp8 v[60:63], a[50:51], a[2:3], v[60:63]// 0000000031F4: D3F3003C 1CF20532
	buffer_load_dwordx4 a[96:99], v37, s[84:87], 0 offen       // 0000000031FC: E05C1000 80956025
	v_mfma_f32_16x16x32_fp8_fp8 v[60:63], a[52:53], a[4:5], v[60:63]// 000000003204: D3F3003C 1CF20934
	v_mfma_f32_16x16x32_fp8_fp8 v[60:63], a[54:55], a[6:7], v[60:63]// 00000000320C: D3F3003C 1CF20D36
	s_waitcnt vmcnt(9)                                         // 000000003214: BF8C0F79
	v_mfma_f32_16x16x32_fp8_fp8 v[64:67], a[56:57], a[0:1], v[64:67]// 000000003218: D3F30040 1D020138
	v_mfma_f32_16x16x32_fp8_fp8 v[64:67], a[58:59], a[2:3], v[64:67]// 000000003220: D3F30040 1D02053A
	buffer_load_dwordx4 a[100:103], v37, s[84:87], 0 offen offset:1024// 000000003228: E05C1400 80956425
	v_mfma_f32_16x16x32_fp8_fp8 v[64:67], a[60:61], a[4:5], v[64:67]// 000000003230: D3F30040 1D02093C
	v_mfma_f32_16x16x32_fp8_fp8 v[64:67], a[62:63], a[6:7], v[64:67]// 000000003238: D3F30040 1D020D3E
	s_waitcnt vmcnt(8)                                         // 000000003240: BF8C0F78
	v_mfma_f32_16x16x32_fp8_fp8 v[68:71], a[64:65], a[0:1], v[68:71]// 000000003244: D3F30044 1D120140
	v_mfma_f32_16x16x32_fp8_fp8 v[68:71], a[66:67], a[2:3], v[68:71]// 00000000324C: D3F30044 1D120542
	buffer_load_dwordx4 a[104:107], v38, s[84:87], 0 offen     // 000000003254: E05C1000 80956826
	v_mfma_f32_16x16x32_fp8_fp8 v[68:71], a[68:69], a[4:5], v[68:71]// 00000000325C: D3F30044 1D120944
	v_mfma_f32_16x16x32_fp8_fp8 v[68:71], a[70:71], a[6:7], v[68:71]// 000000003264: D3F30044 1D120D46
	s_waitcnt vmcnt(7)                                         // 00000000326C: BF8C0F77
	v_mfma_f32_16x16x32_fp8_fp8 v[72:75], a[72:73], a[0:1], v[72:75]// 000000003270: D3F30048 1D220148
	v_mfma_f32_16x16x32_fp8_fp8 v[72:75], a[74:75], a[2:3], v[72:75]// 000000003278: D3F30048 1D22054A
	buffer_load_dwordx4 a[108:111], v38, s[84:87], 0 offen offset:1024// 000000003280: E05C1400 80956C26
	s_add_u32 s60, 0x80, s80                                   // 000000003288: 803C50FF 00000080
	s_cmp_lt_u32 s60, s81                                      // 000000003290: BF0A513C
	s_cselect_b32 s83, s83, 0                                  // 000000003294: 85538053
	v_mfma_f32_16x16x32_fp8_fp8 v[72:75], a[76:77], a[4:5], v[72:75]// 000000003298: D3F30048 1D22094C
	v_mfma_f32_16x16x32_fp8_fp8 v[72:75], a[78:79], a[6:7], v[72:75]// 0000000032A0: D3F30048 1D220D4E
	buffer_load_dwordx4 a[112:115], v39, s[84:87], 0 offen     // 0000000032A8: E05C1000 80957027
	buffer_load_dwordx4 a[116:119], v39, s[84:87], 0 offen offset:1024// 0000000032B0: E05C1400 80957427
	buffer_load_dwordx4 a[120:123], v40, s[84:87], 0 offen     // 0000000032B8: E05C1000 80957828
	buffer_load_dwordx4 a[124:127], v40, s[84:87], 0 offen offset:1024// 0000000032C0: E05C1400 80957C28
	buffer_load_dwordx4 a[128:131], v41, s[84:87], 0 offen     // 0000000032C8: E05C1000 80958029
	buffer_load_dwordx4 a[132:135], v41, s[84:87], 0 offen offset:1024// 0000000032D0: E05C1400 80958429
	buffer_load_dwordx4 a[136:139], v42, s[84:87], 0 offen     // 0000000032D8: E05C1000 8095882A
	buffer_load_dwordx4 a[140:143], v42, s[84:87], 0 offen offset:1024// 0000000032E0: E05C1400 80958C2A
	buffer_load_dword v33, s[20:23], 0 offen lds               // 0000000032E8: E0511000 80050021
	s_add_u32 m0, 0x100, s48                                   // 0000000032F0: 807C30FF 00000100
	buffer_load_dword v34, s[20:23], 0 offen lds               // 0000000032F8: E0511000 80050022
	s_add_u32 m0, 0, s49                                       // 000000003300: 807C3180
	s_waitcnt vmcnt(2)                                         // 000000003304: BF8C0F72
	v_mfma_f32_16x16x32_fp8_fp8 v[76:79], a[80:81], a[0:1], v[76:79]// 000000003308: D3F3004C 1D320150
	v_mfma_f32_16x16x32_fp8_fp8 v[76:79], a[82:83], a[2:3], v[76:79]// 000000003310: D3F3004C 1D320552
	buffer_load_dwordx4 a[16:19], v35, s[24:27], 0 offen       // 000000003318: E05C1000 80861023
	v_mfma_f32_16x16x32_fp8_fp8 v[76:79], a[84:85], a[4:5], v[76:79]// 000000003320: D3F3004C 1D320954
	v_mfma_f32_16x16x32_fp8_fp8 v[76:79], a[86:87], a[6:7], v[76:79]// 000000003328: D3F3004C 1D320D56
	ds_read_b128 a[8:11], v2 offset:2176                       // 000000003330: DBFE0880 08000002
	ds_read_b128 a[12:15], v2 offset:2240                      // 000000003338: DBFE08C0 0C000002
	v_mfma_f32_16x16x32_fp8_fp8 v[80:83], a[88:89], a[0:1], v[80:83]// 000000003340: D3F30050 1D420158
	v_mfma_f32_16x16x32_fp8_fp8 v[80:83], a[90:91], a[2:3], v[80:83]// 000000003348: D3F30050 1D42055A
	buffer_load_dwordx4 a[20:23], v35, s[24:27], 0 offen offset:1024// 000000003350: E05C1400 80861423
	v_mfma_f32_16x16x32_fp8_fp8 v[80:83], a[92:93], a[4:5], v[80:83]// 000000003358: D3F30050 1D42095C
	v_mfma_f32_16x16x32_fp8_fp8 v[80:83], a[94:95], a[6:7], v[80:83]// 000000003360: D3F30050 1D420D5E
	v_mfma_f32_16x16x32_fp8_fp8 v[84:87], a[96:97], a[0:1], v[84:87]// 000000003368: D3F30054 1D520160
	v_mfma_f32_16x16x32_fp8_fp8 v[84:87], a[98:99], a[2:3], v[84:87]// 000000003370: D3F30054 1D520562
	buffer_load_dwordx4 a[24:27], v36, s[24:27], 0 offen       // 000000003378: E05C1000 80861824
	v_mfma_f32_16x16x32_fp8_fp8 v[84:87], a[100:101], a[4:5], v[84:87]// 000000003380: D3F30054 1D520964
	v_mfma_f32_16x16x32_fp8_fp8 v[84:87], a[102:103], a[6:7], v[84:87]// 000000003388: D3F30054 1D520D66
	v_mfma_f32_16x16x32_fp8_fp8 v[88:91], a[104:105], a[0:1], v[88:91]// 000000003390: D3F30058 1D620168
	v_mfma_f32_16x16x32_fp8_fp8 v[88:91], a[106:107], a[2:3], v[88:91]// 000000003398: D3F30058 1D62056A
	buffer_load_dwordx4 a[28:31], v36, s[24:27], 0 offen offset:1024// 0000000033A0: E05C1400 80861C24
	v_mfma_f32_16x16x32_fp8_fp8 v[88:91], a[108:109], a[4:5], v[88:91]// 0000000033A8: D3F30058 1D62096C
	v_mfma_f32_16x16x32_fp8_fp8 v[88:91], a[110:111], a[6:7], v[88:91]// 0000000033B0: D3F30058 1D620D6E
	v_mfma_f32_16x16x32_fp8_fp8 v[92:95], a[112:113], a[0:1], v[92:95]// 0000000033B8: D3F3005C 1D720170
	v_mfma_f32_16x16x32_fp8_fp8 v[92:95], a[114:115], a[2:3], v[92:95]// 0000000033C0: D3F3005C 1D720572
	buffer_load_dwordx4 a[32:35], v37, s[24:27], 0 offen       // 0000000033C8: E05C1000 80862025
	v_mfma_f32_16x16x32_fp8_fp8 v[92:95], a[116:117], a[4:5], v[92:95]// 0000000033D0: D3F3005C 1D720974
	v_mfma_f32_16x16x32_fp8_fp8 v[92:95], a[118:119], a[6:7], v[92:95]// 0000000033D8: D3F3005C 1D720D76
	v_mfma_f32_16x16x32_fp8_fp8 v[96:99], a[120:121], a[0:1], v[96:99]// 0000000033E0: D3F30060 1D820178
	v_mfma_f32_16x16x32_fp8_fp8 v[96:99], a[122:123], a[2:3], v[96:99]// 0000000033E8: D3F30060 1D82057A
	buffer_load_dwordx4 a[36:39], v37, s[24:27], 0 offen offset:1024// 0000000033F0: E05C1400 80862425
	v_mfma_f32_16x16x32_fp8_fp8 v[96:99], a[124:125], a[4:5], v[96:99]// 0000000033F8: D3F30060 1D82097C
	v_mfma_f32_16x16x32_fp8_fp8 v[96:99], a[126:127], a[6:7], v[96:99]// 000000003400: D3F30060 1D820D7E
	v_mfma_f32_16x16x32_fp8_fp8 v[100:103], a[128:129], a[0:1], v[100:103]// 000000003408: D3F30064 1D920180
	v_mfma_f32_16x16x32_fp8_fp8 v[100:103], a[130:131], a[2:3], v[100:103]// 000000003410: D3F30064 1D920582
	buffer_load_dwordx4 a[40:43], v38, s[24:27], 0 offen       // 000000003418: E05C1000 80862826
	v_mfma_f32_16x16x32_fp8_fp8 v[100:103], a[132:133], a[4:5], v[100:103]// 000000003420: D3F30064 1D920984
	s_add_u32 s60, 0x180, s80                                  // 000000003428: 803C50FF 00000180
	s_cmp_lt_u32 s60, s81                                      // 000000003430: BF0A513C
	s_cselect_b32 s57, s57, 0                                  // 000000003434: 85398039
	v_mfma_f32_16x16x32_fp8_fp8 v[100:103], a[134:135], a[6:7], v[100:103]// 000000003438: D3F30064 1D920D86
	s_add_u32 s60, 0x100, s80                                  // 000000003440: 803C50FF 00000100
	s_cmp_lt_u32 s60, s81                                      // 000000003448: BF0A513C
	s_cselect_b32 s58, s58, 0                                  // 00000000344C: 853A803A
	v_mfma_f32_16x16x32_fp8_fp8 v[104:107], a[136:137], a[0:1], v[104:107]// 000000003450: D3F30068 1DA20188
	v_mfma_f32_16x16x32_fp8_fp8 v[104:107], a[138:139], a[2:3], v[104:107]// 000000003458: D3F30068 1DA2058A
	buffer_load_dwordx4 a[44:47], v38, s[24:27], 0 offen offset:1024// 000000003460: E05C1400 80862C26
	s_add_u32 s20, s57, s20                                    // 000000003468: 80141439
	s_addc_u32 s21, 0, s21                                     // 00000000346C: 82151580
	v_mfma_f32_16x16x32_fp8_fp8 v[104:107], a[140:141], a[4:5], v[104:107]// 000000003470: D3F30068 1DA2098C
	s_add_u32 s84, s83, s84                                    // 000000003478: 80545453
	s_addc_u32 s85, 0, s85                                     // 00000000347C: 82555580
	v_mfma_f32_16x16x32_fp8_fp8 v[104:107], a[142:143], a[6:7], v[104:107]// 000000003480: D3F30068 1DA20D8E
	buffer_load_dwordx4 a[48:51], v39, s[24:27], 0 offen       // 000000003488: E05C1000 80863027
	buffer_load_dwordx4 a[52:55], v39, s[24:27], 0 offen offset:1024// 000000003490: E05C1400 80863427
	buffer_load_dwordx4 a[56:59], v40, s[24:27], 0 offen       // 000000003498: E05C1000 80863828
	buffer_load_dwordx4 a[60:63], v40, s[24:27], 0 offen offset:1024// 0000000034A0: E05C1400 80863C28
	buffer_load_dwordx4 a[64:67], v41, s[24:27], 0 offen       // 0000000034A8: E05C1000 80864029
	buffer_load_dwordx4 a[68:71], v41, s[24:27], 0 offen offset:1024// 0000000034B0: E05C1400 80864429
	buffer_load_dwordx4 a[72:75], v42, s[24:27], 0 offen       // 0000000034B8: E05C1000 8086482A
	buffer_load_dwordx4 a[76:79], v42, s[24:27], 0 offen offset:1024// 0000000034C0: E05C1400 80864C2A
	s_add_u32 s24, s58, s24                                    // 0000000034C8: 8018183A
	s_addc_u32 s25, 0, s25                                     // 0000000034CC: 82191980
	s_addk_i32 s80, 0x80                                       // 0000000034D0: B7500080
	s_cmp_lt_i32 s80, s81                                      // 0000000034D4: BF045150
	s_cbranch_scc0 label_03A2                                  // 0000000034D8: BF8400EB
	s_waitcnt vmcnt(14) lgkmcnt(0)                             // 0000000034DC: BF8C007E
	s_barrier                                                  // 0000000034E0: BF8A0000
	v_mfma_f32_16x16x32_fp8_fp8 v[44:47], a[16:17], a[8:9], v[44:47]// 0000000034E4: D3F3002C 1CB21110
	v_mfma_f32_16x16x32_fp8_fp8 v[44:47], a[18:19], a[10:11], v[44:47]// 0000000034EC: D3F3002C 1CB21512
	buffer_load_dwordx4 a[80:83], v35, s[84:87], 0 offen       // 0000000034F4: E05C1000 80955023
	v_mfma_f32_16x16x32_fp8_fp8 v[44:47], a[20:21], a[12:13], v[44:47]// 0000000034FC: D3F3002C 1CB21914
	v_mfma_f32_16x16x32_fp8_fp8 v[44:47], a[22:23], a[14:15], v[44:47]// 000000003504: D3F3002C 1CB21D16
	s_waitcnt vmcnt(13)                                        // 00000000350C: BF8C0F7D
	v_mfma_f32_16x16x32_fp8_fp8 v[48:51], a[24:25], a[8:9], v[48:51]// 000000003510: D3F30030 1CC21118
	v_mfma_f32_16x16x32_fp8_fp8 v[48:51], a[26:27], a[10:11], v[48:51]// 000000003518: D3F30030 1CC2151A
	buffer_load_dwordx4 a[84:87], v35, s[84:87], 0 offen offset:1024// 000000003520: E05C1400 80955423
	v_mfma_f32_16x16x32_fp8_fp8 v[48:51], a[28:29], a[12:13], v[48:51]// 000000003528: D3F30030 1CC2191C
	v_mfma_f32_16x16x32_fp8_fp8 v[48:51], a[30:31], a[14:15], v[48:51]// 000000003530: D3F30030 1CC21D1E
	s_waitcnt vmcnt(12)                                        // 000000003538: BF8C0F7C
	v_mfma_f32_16x16x32_fp8_fp8 v[52:55], a[32:33], a[8:9], v[52:55]// 00000000353C: D3F30034 1CD21120
	v_mfma_f32_16x16x32_fp8_fp8 v[52:55], a[34:35], a[10:11], v[52:55]// 000000003544: D3F30034 1CD21522
	buffer_load_dwordx4 a[88:91], v36, s[84:87], 0 offen       // 00000000354C: E05C1000 80955824
	v_mfma_f32_16x16x32_fp8_fp8 v[52:55], a[36:37], a[12:13], v[52:55]// 000000003554: D3F30034 1CD21924
	v_mfma_f32_16x16x32_fp8_fp8 v[52:55], a[38:39], a[14:15], v[52:55]// 00000000355C: D3F30034 1CD21D26
	s_waitcnt vmcnt(11)                                        // 000000003564: BF8C0F7B
	v_mfma_f32_16x16x32_fp8_fp8 v[56:59], a[40:41], a[8:9], v[56:59]// 000000003568: D3F30038 1CE21128
	v_mfma_f32_16x16x32_fp8_fp8 v[56:59], a[42:43], a[10:11], v[56:59]// 000000003570: D3F30038 1CE2152A
	buffer_load_dwordx4 a[92:95], v36, s[84:87], 0 offen offset:1024// 000000003578: E05C1400 80955C24
	v_mfma_f32_16x16x32_fp8_fp8 v[56:59], a[44:45], a[12:13], v[56:59]// 000000003580: D3F30038 1CE2192C
	v_mfma_f32_16x16x32_fp8_fp8 v[56:59], a[46:47], a[14:15], v[56:59]// 000000003588: D3F30038 1CE21D2E
	s_waitcnt vmcnt(10)                                        // 000000003590: BF8C0F7A
	v_mfma_f32_16x16x32_fp8_fp8 v[60:63], a[48:49], a[8:9], v[60:63]// 000000003594: D3F3003C 1CF21130
	v_mfma_f32_16x16x32_fp8_fp8 v[60:63], a[50:51], a[10:11], v[60:63]// 00000000359C: D3F3003C 1CF21532
	buffer_load_dwordx4 a[96:99], v37, s[84:87], 0 offen       // 0000000035A4: E05C1000 80956025
	v_mfma_f32_16x16x32_fp8_fp8 v[60:63], a[52:53], a[12:13], v[60:63]// 0000000035AC: D3F3003C 1CF21934
	v_mfma_f32_16x16x32_fp8_fp8 v[60:63], a[54:55], a[14:15], v[60:63]// 0000000035B4: D3F3003C 1CF21D36
	s_waitcnt vmcnt(9)                                         // 0000000035BC: BF8C0F79
	v_mfma_f32_16x16x32_fp8_fp8 v[64:67], a[56:57], a[8:9], v[64:67]// 0000000035C0: D3F30040 1D021138
	v_mfma_f32_16x16x32_fp8_fp8 v[64:67], a[58:59], a[10:11], v[64:67]// 0000000035C8: D3F30040 1D02153A
	buffer_load_dwordx4 a[100:103], v37, s[84:87], 0 offen offset:1024// 0000000035D0: E05C1400 80956425
	v_mfma_f32_16x16x32_fp8_fp8 v[64:67], a[60:61], a[12:13], v[64:67]// 0000000035D8: D3F30040 1D02193C
	v_mfma_f32_16x16x32_fp8_fp8 v[64:67], a[62:63], a[14:15], v[64:67]// 0000000035E0: D3F30040 1D021D3E
	s_waitcnt vmcnt(8)                                         // 0000000035E8: BF8C0F78
	v_mfma_f32_16x16x32_fp8_fp8 v[68:71], a[64:65], a[8:9], v[68:71]// 0000000035EC: D3F30044 1D121140
	v_mfma_f32_16x16x32_fp8_fp8 v[68:71], a[66:67], a[10:11], v[68:71]// 0000000035F4: D3F30044 1D121542
	buffer_load_dwordx4 a[104:107], v38, s[84:87], 0 offen     // 0000000035FC: E05C1000 80956826
	v_mfma_f32_16x16x32_fp8_fp8 v[68:71], a[68:69], a[12:13], v[68:71]// 000000003604: D3F30044 1D121944
	v_mfma_f32_16x16x32_fp8_fp8 v[68:71], a[70:71], a[14:15], v[68:71]// 00000000360C: D3F30044 1D121D46
	s_waitcnt vmcnt(7)                                         // 000000003614: BF8C0F77
	v_mfma_f32_16x16x32_fp8_fp8 v[72:75], a[72:73], a[8:9], v[72:75]// 000000003618: D3F30048 1D221148
	v_mfma_f32_16x16x32_fp8_fp8 v[72:75], a[74:75], a[10:11], v[72:75]// 000000003620: D3F30048 1D22154A
	buffer_load_dwordx4 a[108:111], v38, s[84:87], 0 offen offset:1024// 000000003628: E05C1400 80956C26
	s_add_u32 s60, 0x80, s80                                   // 000000003630: 803C50FF 00000080
	s_cmp_lt_u32 s60, s81                                      // 000000003638: BF0A513C
	s_cselect_b32 s83, s83, 0                                  // 00000000363C: 85538053
	v_mfma_f32_16x16x32_fp8_fp8 v[72:75], a[76:77], a[12:13], v[72:75]// 000000003640: D3F30048 1D22194C
	v_mfma_f32_16x16x32_fp8_fp8 v[72:75], a[78:79], a[14:15], v[72:75]// 000000003648: D3F30048 1D221D4E
	buffer_load_dwordx4 a[112:115], v39, s[84:87], 0 offen     // 000000003650: E05C1000 80957027
	buffer_load_dwordx4 a[116:119], v39, s[84:87], 0 offen offset:1024// 000000003658: E05C1400 80957427
	buffer_load_dwordx4 a[120:123], v40, s[84:87], 0 offen     // 000000003660: E05C1000 80957828
	buffer_load_dwordx4 a[124:127], v40, s[84:87], 0 offen offset:1024// 000000003668: E05C1400 80957C28
	buffer_load_dwordx4 a[128:131], v41, s[84:87], 0 offen     // 000000003670: E05C1000 80958029
	buffer_load_dwordx4 a[132:135], v41, s[84:87], 0 offen offset:1024// 000000003678: E05C1400 80958429
	buffer_load_dwordx4 a[136:139], v42, s[84:87], 0 offen     // 000000003680: E05C1000 8095882A
	buffer_load_dwordx4 a[140:143], v42, s[84:87], 0 offen offset:1024// 000000003688: E05C1400 80958C2A
	buffer_load_dword v33, s[20:23], 0 offen lds               // 000000003690: E0511000 80050021
	s_add_u32 m0, 0x100, s49                                   // 000000003698: 807C31FF 00000100
	buffer_load_dword v34, s[20:23], 0 offen lds               // 0000000036A0: E0511000 80050022
	s_add_u32 m0, 0, s48                                       // 0000000036A8: 807C3080
	s_waitcnt vmcnt(2)                                         // 0000000036AC: BF8C0F72
	v_mfma_f32_16x16x32_fp8_fp8 v[76:79], a[80:81], a[8:9], v[76:79]// 0000000036B0: D3F3004C 1D321150
	v_mfma_f32_16x16x32_fp8_fp8 v[76:79], a[82:83], a[10:11], v[76:79]// 0000000036B8: D3F3004C 1D321552
	buffer_load_dwordx4 a[16:19], v35, s[24:27], 0 offen       // 0000000036C0: E05C1000 80861023
	v_mfma_f32_16x16x32_fp8_fp8 v[76:79], a[84:85], a[12:13], v[76:79]// 0000000036C8: D3F3004C 1D321954
	v_mfma_f32_16x16x32_fp8_fp8 v[76:79], a[86:87], a[14:15], v[76:79]// 0000000036D0: D3F3004C 1D321D56
	ds_read_b128 a[0:3], v2                                    // 0000000036D8: DBFE0000 00000002
	ds_read_b128 a[4:7], v2 offset:64                          // 0000000036E0: DBFE0040 04000002
	v_mfma_f32_16x16x32_fp8_fp8 v[80:83], a[88:89], a[8:9], v[80:83]// 0000000036E8: D3F30050 1D421158
	v_mfma_f32_16x16x32_fp8_fp8 v[80:83], a[90:91], a[10:11], v[80:83]// 0000000036F0: D3F30050 1D42155A
	buffer_load_dwordx4 a[20:23], v35, s[24:27], 0 offen offset:1024// 0000000036F8: E05C1400 80861423
	v_mfma_f32_16x16x32_fp8_fp8 v[80:83], a[92:93], a[12:13], v[80:83]// 000000003700: D3F30050 1D42195C
	v_mfma_f32_16x16x32_fp8_fp8 v[80:83], a[94:95], a[14:15], v[80:83]// 000000003708: D3F30050 1D421D5E
	v_mfma_f32_16x16x32_fp8_fp8 v[84:87], a[96:97], a[8:9], v[84:87]// 000000003710: D3F30054 1D521160
	v_mfma_f32_16x16x32_fp8_fp8 v[84:87], a[98:99], a[10:11], v[84:87]// 000000003718: D3F30054 1D521562
	buffer_load_dwordx4 a[24:27], v36, s[24:27], 0 offen       // 000000003720: E05C1000 80861824
	v_mfma_f32_16x16x32_fp8_fp8 v[84:87], a[100:101], a[12:13], v[84:87]// 000000003728: D3F30054 1D521964
	v_mfma_f32_16x16x32_fp8_fp8 v[84:87], a[102:103], a[14:15], v[84:87]// 000000003730: D3F30054 1D521D66
	v_mfma_f32_16x16x32_fp8_fp8 v[88:91], a[104:105], a[8:9], v[88:91]// 000000003738: D3F30058 1D621168
	v_mfma_f32_16x16x32_fp8_fp8 v[88:91], a[106:107], a[10:11], v[88:91]// 000000003740: D3F30058 1D62156A
	buffer_load_dwordx4 a[28:31], v36, s[24:27], 0 offen offset:1024// 000000003748: E05C1400 80861C24
	v_mfma_f32_16x16x32_fp8_fp8 v[88:91], a[108:109], a[12:13], v[88:91]// 000000003750: D3F30058 1D62196C
	v_mfma_f32_16x16x32_fp8_fp8 v[88:91], a[110:111], a[14:15], v[88:91]// 000000003758: D3F30058 1D621D6E
	v_mfma_f32_16x16x32_fp8_fp8 v[92:95], a[112:113], a[8:9], v[92:95]// 000000003760: D3F3005C 1D721170
	v_mfma_f32_16x16x32_fp8_fp8 v[92:95], a[114:115], a[10:11], v[92:95]// 000000003768: D3F3005C 1D721572
	buffer_load_dwordx4 a[32:35], v37, s[24:27], 0 offen       // 000000003770: E05C1000 80862025
	v_mfma_f32_16x16x32_fp8_fp8 v[92:95], a[116:117], a[12:13], v[92:95]// 000000003778: D3F3005C 1D721974
	v_mfma_f32_16x16x32_fp8_fp8 v[92:95], a[118:119], a[14:15], v[92:95]// 000000003780: D3F3005C 1D721D76
	v_mfma_f32_16x16x32_fp8_fp8 v[96:99], a[120:121], a[8:9], v[96:99]// 000000003788: D3F30060 1D821178
	v_mfma_f32_16x16x32_fp8_fp8 v[96:99], a[122:123], a[10:11], v[96:99]// 000000003790: D3F30060 1D82157A
	buffer_load_dwordx4 a[36:39], v37, s[24:27], 0 offen offset:1024// 000000003798: E05C1400 80862425
	v_mfma_f32_16x16x32_fp8_fp8 v[96:99], a[124:125], a[12:13], v[96:99]// 0000000037A0: D3F30060 1D82197C
	v_mfma_f32_16x16x32_fp8_fp8 v[96:99], a[126:127], a[14:15], v[96:99]// 0000000037A8: D3F30060 1D821D7E
	v_mfma_f32_16x16x32_fp8_fp8 v[100:103], a[128:129], a[8:9], v[100:103]// 0000000037B0: D3F30064 1D921180
	v_mfma_f32_16x16x32_fp8_fp8 v[100:103], a[130:131], a[10:11], v[100:103]// 0000000037B8: D3F30064 1D921582
	buffer_load_dwordx4 a[40:43], v38, s[24:27], 0 offen       // 0000000037C0: E05C1000 80862826
	v_mfma_f32_16x16x32_fp8_fp8 v[100:103], a[132:133], a[12:13], v[100:103]// 0000000037C8: D3F30064 1D921984
	s_add_u32 s60, 0x180, s80                                  // 0000000037D0: 803C50FF 00000180
	s_cmp_lt_u32 s60, s81                                      // 0000000037D8: BF0A513C
	s_cselect_b32 s57, s57, 0                                  // 0000000037DC: 85398039
	v_mfma_f32_16x16x32_fp8_fp8 v[100:103], a[134:135], a[14:15], v[100:103]// 0000000037E0: D3F30064 1D921D86
	s_add_u32 s60, 0x100, s80                                  // 0000000037E8: 803C50FF 00000100
	s_cmp_lt_u32 s60, s81                                      // 0000000037F0: BF0A513C
	s_cselect_b32 s58, s58, 0                                  // 0000000037F4: 853A803A
	v_mfma_f32_16x16x32_fp8_fp8 v[104:107], a[136:137], a[8:9], v[104:107]// 0000000037F8: D3F30068 1DA21188
	v_mfma_f32_16x16x32_fp8_fp8 v[104:107], a[138:139], a[10:11], v[104:107]// 000000003800: D3F30068 1DA2158A
	buffer_load_dwordx4 a[44:47], v38, s[24:27], 0 offen offset:1024// 000000003808: E05C1400 80862C26
	s_add_u32 s20, s57, s20                                    // 000000003810: 80141439
	s_addc_u32 s21, 0, s21                                     // 000000003814: 82151580
	v_mfma_f32_16x16x32_fp8_fp8 v[104:107], a[140:141], a[12:13], v[104:107]// 000000003818: D3F30068 1DA2198C
	s_add_u32 s84, s83, s84                                    // 000000003820: 80545453
	s_addc_u32 s85, 0, s85                                     // 000000003824: 82555580
	v_mfma_f32_16x16x32_fp8_fp8 v[104:107], a[142:143], a[14:15], v[104:107]// 000000003828: D3F30068 1DA21D8E
	buffer_load_dwordx4 a[48:51], v39, s[24:27], 0 offen       // 000000003830: E05C1000 80863027
	buffer_load_dwordx4 a[52:55], v39, s[24:27], 0 offen offset:1024// 000000003838: E05C1400 80863427
	buffer_load_dwordx4 a[56:59], v40, s[24:27], 0 offen       // 000000003840: E05C1000 80863828
	buffer_load_dwordx4 a[60:63], v40, s[24:27], 0 offen offset:1024// 000000003848: E05C1400 80863C28
	buffer_load_dwordx4 a[64:67], v41, s[24:27], 0 offen       // 000000003850: E05C1000 80864029
	buffer_load_dwordx4 a[68:71], v41, s[24:27], 0 offen offset:1024// 000000003858: E05C1400 80864429
	buffer_load_dwordx4 a[72:75], v42, s[24:27], 0 offen       // 000000003860: E05C1000 8086482A
	buffer_load_dwordx4 a[76:79], v42, s[24:27], 0 offen offset:1024// 000000003868: E05C1400 80864C2A
	s_add_u32 s24, s58, s24                                    // 000000003870: 8018183A
	s_addc_u32 s25, 0, s25                                     // 000000003874: 82191980
	s_addk_i32 s80, 0x80                                       // 000000003878: B7500080
	s_cmp_lt_i32 s80, s81                                      // 00000000387C: BF045150
	s_cbranch_scc0 label_03A2                                  // 000000003880: BF840001
	s_branch label_01CD                                        // 000000003884: BF82FE2B

0000000000003888 <label_03A2>:
	v_mul_f32_dpp v44, v25, v44 row_newbcast:0 row_mask:0xf bank_mask:0xf// 000000003888: 0A5858FA FF015019
	v_mul_f32_dpp v45, v25, v45 row_newbcast:1 row_mask:0xf bank_mask:0xf// 000000003890: 0A5A5AFA FF015119
	v_mul_f32_dpp v46, v25, v46 row_newbcast:2 row_mask:0xf bank_mask:0xf// 000000003898: 0A5C5CFA FF015219
	v_mul_f32_dpp v47, v25, v47 row_newbcast:3 row_mask:0xf bank_mask:0xf// 0000000038A0: 0A5E5EFA FF015319
	v_mul_f32_dpp v48, v25, v48 row_newbcast:4 row_mask:0xf bank_mask:0xf// 0000000038A8: 0A6060FA FF015419
	v_mul_f32_dpp v49, v25, v49 row_newbcast:5 row_mask:0xf bank_mask:0xf// 0000000038B0: 0A6262FA FF015519
	v_mul_f32_dpp v50, v25, v50 row_newbcast:6 row_mask:0xf bank_mask:0xf// 0000000038B8: 0A6464FA FF015619
	v_mul_f32_dpp v51, v25, v51 row_newbcast:7 row_mask:0xf bank_mask:0xf// 0000000038C0: 0A6666FA FF015719
	v_mul_f32_dpp v52, v25, v52 row_newbcast:8 row_mask:0xf bank_mask:0xf// 0000000038C8: 0A6868FA FF015819
	v_mul_f32_dpp v53, v25, v53 row_newbcast:9 row_mask:0xf bank_mask:0xf// 0000000038D0: 0A6A6AFA FF015919
	v_mul_f32_dpp v54, v25, v54 row_newbcast:10 row_mask:0xf bank_mask:0xf// 0000000038D8: 0A6C6CFA FF015A19
	v_mul_f32_dpp v55, v25, v55 row_newbcast:11 row_mask:0xf bank_mask:0xf// 0000000038E0: 0A6E6EFA FF015B19
	v_mul_f32_dpp v56, v25, v56 row_newbcast:12 row_mask:0xf bank_mask:0xf// 0000000038E8: 0A7070FA FF015C19
	v_mul_f32_dpp v57, v25, v57 row_newbcast:13 row_mask:0xf bank_mask:0xf// 0000000038F0: 0A7272FA FF015D19
	v_mul_f32_dpp v58, v25, v58 row_newbcast:14 row_mask:0xf bank_mask:0xf// 0000000038F8: 0A7474FA FF015E19
	v_mul_f32_dpp v59, v25, v59 row_newbcast:15 row_mask:0xf bank_mask:0xf// 000000003900: 0A7676FA FF015F19
	v_mul_f32_dpp v60, v26, v60 row_newbcast:0 row_mask:0xf bank_mask:0xf// 000000003908: 0A7878FA FF01501A
	v_mul_f32_dpp v61, v26, v61 row_newbcast:1 row_mask:0xf bank_mask:0xf// 000000003910: 0A7A7AFA FF01511A
	v_mul_f32_dpp v62, v26, v62 row_newbcast:2 row_mask:0xf bank_mask:0xf// 000000003918: 0A7C7CFA FF01521A
	v_mul_f32_dpp v63, v26, v63 row_newbcast:3 row_mask:0xf bank_mask:0xf// 000000003920: 0A7E7EFA FF01531A
	v_mul_f32_dpp v64, v26, v64 row_newbcast:4 row_mask:0xf bank_mask:0xf// 000000003928: 0A8080FA FF01541A
	v_mul_f32_dpp v65, v26, v65 row_newbcast:5 row_mask:0xf bank_mask:0xf// 000000003930: 0A8282FA FF01551A
	v_mul_f32_dpp v66, v26, v66 row_newbcast:6 row_mask:0xf bank_mask:0xf// 000000003938: 0A8484FA FF01561A
	v_mul_f32_dpp v67, v26, v67 row_newbcast:7 row_mask:0xf bank_mask:0xf// 000000003940: 0A8686FA FF01571A
	v_mul_f32_dpp v68, v26, v68 row_newbcast:8 row_mask:0xf bank_mask:0xf// 000000003948: 0A8888FA FF01581A
	v_mul_f32_dpp v69, v26, v69 row_newbcast:9 row_mask:0xf bank_mask:0xf// 000000003950: 0A8A8AFA FF01591A
	v_mul_f32_dpp v70, v26, v70 row_newbcast:10 row_mask:0xf bank_mask:0xf// 000000003958: 0A8C8CFA FF015A1A
	v_mul_f32_dpp v71, v26, v71 row_newbcast:11 row_mask:0xf bank_mask:0xf// 000000003960: 0A8E8EFA FF015B1A
	v_mul_f32_dpp v72, v26, v72 row_newbcast:12 row_mask:0xf bank_mask:0xf// 000000003968: 0A9090FA FF015C1A
	v_mul_f32_dpp v73, v26, v73 row_newbcast:13 row_mask:0xf bank_mask:0xf// 000000003970: 0A9292FA FF015D1A
	v_mul_f32_dpp v74, v26, v74 row_newbcast:14 row_mask:0xf bank_mask:0xf// 000000003978: 0A9494FA FF015E1A
	v_mul_f32_dpp v75, v26, v75 row_newbcast:15 row_mask:0xf bank_mask:0xf// 000000003980: 0A9696FA FF015F1A
	v_mul_f32_dpp v76, v27, v76 row_newbcast:0 row_mask:0xf bank_mask:0xf// 000000003988: 0A9898FA FF01501B
	v_mul_f32_dpp v77, v27, v77 row_newbcast:1 row_mask:0xf bank_mask:0xf// 000000003990: 0A9A9AFA FF01511B
	v_mul_f32_dpp v78, v27, v78 row_newbcast:2 row_mask:0xf bank_mask:0xf// 000000003998: 0A9C9CFA FF01521B
	v_mul_f32_dpp v79, v27, v79 row_newbcast:3 row_mask:0xf bank_mask:0xf// 0000000039A0: 0A9E9EFA FF01531B
	v_mul_f32_dpp v80, v27, v80 row_newbcast:4 row_mask:0xf bank_mask:0xf// 0000000039A8: 0AA0A0FA FF01541B
	v_mul_f32_dpp v81, v27, v81 row_newbcast:5 row_mask:0xf bank_mask:0xf// 0000000039B0: 0AA2A2FA FF01551B
	v_mul_f32_dpp v82, v27, v82 row_newbcast:6 row_mask:0xf bank_mask:0xf// 0000000039B8: 0AA4A4FA FF01561B
	v_mul_f32_dpp v83, v27, v83 row_newbcast:7 row_mask:0xf bank_mask:0xf// 0000000039C0: 0AA6A6FA FF01571B
	v_mul_f32_dpp v84, v27, v84 row_newbcast:8 row_mask:0xf bank_mask:0xf// 0000000039C8: 0AA8A8FA FF01581B
	v_mul_f32_dpp v85, v27, v85 row_newbcast:9 row_mask:0xf bank_mask:0xf// 0000000039D0: 0AAAAAFA FF01591B
	v_mul_f32_dpp v86, v27, v86 row_newbcast:10 row_mask:0xf bank_mask:0xf// 0000000039D8: 0AACACFA FF015A1B
	v_mul_f32_dpp v87, v27, v87 row_newbcast:11 row_mask:0xf bank_mask:0xf// 0000000039E0: 0AAEAEFA FF015B1B
	v_mul_f32_dpp v88, v27, v88 row_newbcast:12 row_mask:0xf bank_mask:0xf// 0000000039E8: 0AB0B0FA FF015C1B
	v_mul_f32_dpp v89, v27, v89 row_newbcast:13 row_mask:0xf bank_mask:0xf// 0000000039F0: 0AB2B2FA FF015D1B
	v_mul_f32_dpp v90, v27, v90 row_newbcast:14 row_mask:0xf bank_mask:0xf// 0000000039F8: 0AB4B4FA FF015E1B
	v_mul_f32_dpp v91, v27, v91 row_newbcast:15 row_mask:0xf bank_mask:0xf// 000000003A00: 0AB6B6FA FF015F1B
	v_mul_f32_dpp v92, v28, v92 row_newbcast:0 row_mask:0xf bank_mask:0xf// 000000003A08: 0AB8B8FA FF01501C
	v_mul_f32_dpp v93, v28, v93 row_newbcast:1 row_mask:0xf bank_mask:0xf// 000000003A10: 0ABABAFA FF01511C
	v_mul_f32_dpp v94, v28, v94 row_newbcast:2 row_mask:0xf bank_mask:0xf// 000000003A18: 0ABCBCFA FF01521C
	v_mul_f32_dpp v95, v28, v95 row_newbcast:3 row_mask:0xf bank_mask:0xf// 000000003A20: 0ABEBEFA FF01531C
	v_mul_f32_dpp v96, v28, v96 row_newbcast:4 row_mask:0xf bank_mask:0xf// 000000003A28: 0AC0C0FA FF01541C
	v_mul_f32_dpp v97, v28, v97 row_newbcast:5 row_mask:0xf bank_mask:0xf// 000000003A30: 0AC2C2FA FF01551C
	v_mul_f32_dpp v98, v28, v98 row_newbcast:6 row_mask:0xf bank_mask:0xf// 000000003A38: 0AC4C4FA FF01561C
	v_mul_f32_dpp v99, v28, v99 row_newbcast:7 row_mask:0xf bank_mask:0xf// 000000003A40: 0AC6C6FA FF01571C
	v_mul_f32_dpp v100, v28, v100 row_newbcast:8 row_mask:0xf bank_mask:0xf// 000000003A48: 0AC8C8FA FF01581C
	v_mul_f32_dpp v101, v28, v101 row_newbcast:9 row_mask:0xf bank_mask:0xf// 000000003A50: 0ACACAFA FF01591C
	v_mul_f32_dpp v102, v28, v102 row_newbcast:10 row_mask:0xf bank_mask:0xf// 000000003A58: 0ACCCCFA FF015A1C
	v_mul_f32_dpp v103, v28, v103 row_newbcast:11 row_mask:0xf bank_mask:0xf// 000000003A60: 0ACECEFA FF015B1C
	v_mul_f32_dpp v104, v28, v104 row_newbcast:12 row_mask:0xf bank_mask:0xf// 000000003A68: 0AD0D0FA FF015C1C
	v_mul_f32_dpp v105, v28, v105 row_newbcast:13 row_mask:0xf bank_mask:0xf// 000000003A70: 0AD2D2FA FF015D1C
	v_mul_f32_dpp v106, v28, v106 row_newbcast:14 row_mask:0xf bank_mask:0xf// 000000003A78: 0AD4D4FA FF015E1C
	v_mul_f32_dpp v107, v28, v107 row_newbcast:15 row_mask:0xf bank_mask:0xf// 000000003A80: 0AD6D6FA FF015F1C
	v_mov_b32_e32 v4, v30                                      // 000000003A88: 7E08031E
	v_mov_b32_e32 v5, v4                                       // 000000003A8C: 7E0A0304
	v_pk_mul_f32 v[44:45], v[4:5], v[44:45]                    // 000000003A90: D3B1402C 18025904
	v_pk_mul_f32 v[76:77], v[4:5], v[76:77]                    // 000000003A98: D3B1404C 18029904
	v_pk_mul_f32 v[46:47], v[4:5], v[46:47]                    // 000000003AA0: D3B1402E 18025D04
	v_pk_mul_f32 v[78:79], v[4:5], v[78:79]                    // 000000003AA8: D3B1404E 18029D04
	v_pk_mul_f32 v[48:49], v[4:5], v[48:49]                    // 000000003AB0: D3B14030 18026104
	v_pk_mul_f32 v[80:81], v[4:5], v[80:81]                    // 000000003AB8: D3B14050 1802A104
	v_pk_mul_f32 v[50:51], v[4:5], v[50:51]                    // 000000003AC0: D3B14032 18026504
	v_pk_mul_f32 v[82:83], v[4:5], v[82:83]                    // 000000003AC8: D3B14052 1802A504
	v_pk_mul_f32 v[52:53], v[4:5], v[52:53]                    // 000000003AD0: D3B14034 18026904
	v_pk_mul_f32 v[84:85], v[4:5], v[84:85]                    // 000000003AD8: D3B14054 1802A904
	v_pk_mul_f32 v[54:55], v[4:5], v[54:55]                    // 000000003AE0: D3B14036 18026D04
	v_pk_mul_f32 v[86:87], v[4:5], v[86:87]                    // 000000003AE8: D3B14056 1802AD04
	v_pk_mul_f32 v[56:57], v[4:5], v[56:57]                    // 000000003AF0: D3B14038 18027104
	v_pk_mul_f32 v[88:89], v[4:5], v[88:89]                    // 000000003AF8: D3B14058 1802B104
	v_pk_mul_f32 v[58:59], v[4:5], v[58:59]                    // 000000003B00: D3B1403A 18027504
	v_pk_mul_f32 v[90:91], v[4:5], v[90:91]                    // 000000003B08: D3B1405A 1802B504
	v_pk_mul_f32 v[60:61], v[4:5], v[60:61]                    // 000000003B10: D3B1403C 18027904
	v_pk_mul_f32 v[92:93], v[4:5], v[92:93]                    // 000000003B18: D3B1405C 1802B904
	v_pk_mul_f32 v[62:63], v[4:5], v[62:63]                    // 000000003B20: D3B1403E 18027D04
	v_pk_mul_f32 v[94:95], v[4:5], v[94:95]                    // 000000003B28: D3B1405E 1802BD04
	v_pk_mul_f32 v[64:65], v[4:5], v[64:65]                    // 000000003B30: D3B14040 18028104
	v_pk_mul_f32 v[96:97], v[4:5], v[96:97]                    // 000000003B38: D3B14060 1802C104
	v_pk_mul_f32 v[66:67], v[4:5], v[66:67]                    // 000000003B40: D3B14042 18028504
	v_pk_mul_f32 v[98:99], v[4:5], v[98:99]                    // 000000003B48: D3B14062 1802C504
	v_pk_mul_f32 v[68:69], v[4:5], v[68:69]                    // 000000003B50: D3B14044 18028904
	v_pk_mul_f32 v[100:101], v[4:5], v[100:101]                // 000000003B58: D3B14064 1802C904
	v_pk_mul_f32 v[70:71], v[4:5], v[70:71]                    // 000000003B60: D3B14046 18028D04
	v_pk_mul_f32 v[102:103], v[4:5], v[102:103]                // 000000003B68: D3B14066 1802CD04
	v_pk_mul_f32 v[72:73], v[4:5], v[72:73]                    // 000000003B70: D3B14048 18029104
	v_pk_mul_f32 v[104:105], v[4:5], v[104:105]                // 000000003B78: D3B14068 1802D104
	v_pk_mul_f32 v[74:75], v[4:5], v[74:75]                    // 000000003B80: D3B1404A 18029504
	v_pk_mul_f32 v[106:107], v[4:5], v[106:107]                // 000000003B88: D3B1406A 1802D504
	s_cmp_eq_u32 s88, 0                                        // 000000003B90: BF068058
	s_cbranch_scc0 label_0843                                  // 000000003B94: BF8403DD
	s_cmp_eq_u32 s89, 0                                        // 000000003B98: BF068059
	s_cbranch_scc1 label_05AD                                  // 000000003B9C: BF850145
	v_mov_b32_e32 v8, v1                                       // 000000003BA0: 7E100301
	v_mov_b32_e32 v9, v1                                       // 000000003BA4: 7E120301
	s_mov_b32 s60, s6                                          // 000000003BA8: BEBC0006
	s_mov_b32 s61, s6                                          // 000000003BAC: BEBD0006
	v_pk_mul_f32 v[4:5], v[44:45], v[44:45]                    // 000000003BB0: D3B14004 1802592C
	v_pk_mul_f32 v[6:7], v[46:47], v[46:47]                    // 000000003BB8: D3B14006 18025D2E
	v_pk_fma_f32 v[4:5], v[4:5], s[78:79], v[8:9]              // 000000003BC0: D3B04004 1C209D04
	v_pk_fma_f32 v[6:7], v[6:7], s[78:79], v[8:9]              // 000000003BC8: D3B04006 1C209D06
	v_pk_mul_f32 v[4:5], v[4:5], v[44:45]                      // 000000003BD0: D3B14004 18025904
	v_pk_mul_f32 v[6:7], v[6:7], v[46:47]                      // 000000003BD8: D3B14006 18025D06
	v_pk_mul_f32 v[4:5], v[4:5], s[60:61]                      // 000000003BE0: D3B14004 18007904
	v_pk_mul_f32 v[6:7], v[6:7], s[60:61]                      // 000000003BE8: D3B14006 18007906
	v_exp_f32_e32 v4, v4                                       // 000000003BF0: 7E084104
	v_exp_f32_e32 v5, v5                                       // 000000003BF4: 7E0A4105
	v_exp_f32_e32 v6, v6                                       // 000000003BF8: 7E0C4106
	v_exp_f32_e32 v7, v7                                       // 000000003BFC: 7E0E4107
	v_add_f32_e64 v4, v4, 1.0                                  // 000000003C00: D1010004 0001E504
	v_add_f32_e64 v5, v5, 1.0                                  // 000000003C08: D1010005 0001E505
	v_add_f32_e64 v6, v6, 1.0                                  // 000000003C10: D1010006 0001E506
	v_add_f32_e64 v7, v7, 1.0                                  // 000000003C18: D1010007 0001E507
	v_rcp_f32_e32 v4, v4                                       // 000000003C20: 7E084504
	v_rcp_f32_e32 v5, v5                                       // 000000003C24: 7E0A4505
	v_rcp_f32_e32 v6, v6                                       // 000000003C28: 7E0C4506
	v_rcp_f32_e32 v7, v7                                       // 000000003C2C: 7E0E4507
	v_mul_f32_e32 v44, v44, v4                                 // 000000003C30: 0A58092C
	v_mul_f32_e32 v45, v45, v5                                 // 000000003C34: 0A5A0B2D
	v_mul_f32_e32 v46, v46, v6                                 // 000000003C38: 0A5C0D2E
	v_mul_f32_e32 v47, v47, v7                                 // 000000003C3C: 0A5E0F2F
	v_mul_f32_e32 v44, v44, v76                                // 000000003C40: 0A58992C
	v_mul_f32_e32 v45, v45, v77                                // 000000003C44: 0A5A9B2D
	v_mul_f32_e32 v46, v46, v78                                // 000000003C48: 0A5C9D2E
	v_mul_f32_e32 v47, v47, v79                                // 000000003C4C: 0A5E9F2F
	v_pk_mul_f32 v[4:5], v[48:49], v[48:49]                    // 000000003C50: D3B14004 18026130
	v_pk_mul_f32 v[6:7], v[50:51], v[50:51]                    // 000000003C58: D3B14006 18026532
	v_pk_fma_f32 v[4:5], v[4:5], s[78:79], v[8:9]              // 000000003C60: D3B04004 1C209D04
	v_pk_fma_f32 v[6:7], v[6:7], s[78:79], v[8:9]              // 000000003C68: D3B04006 1C209D06
	v_pk_mul_f32 v[4:5], v[4:5], v[48:49]                      // 000000003C70: D3B14004 18026104
	v_pk_mul_f32 v[6:7], v[6:7], v[50:51]                      // 000000003C78: D3B14006 18026506
	v_pk_mul_f32 v[4:5], v[4:5], s[60:61]                      // 000000003C80: D3B14004 18007904
	v_pk_mul_f32 v[6:7], v[6:7], s[60:61]                      // 000000003C88: D3B14006 18007906
	v_exp_f32_e32 v4, v4                                       // 000000003C90: 7E084104
	v_exp_f32_e32 v5, v5                                       // 000000003C94: 7E0A4105
	v_exp_f32_e32 v6, v6                                       // 000000003C98: 7E0C4106
	v_exp_f32_e32 v7, v7                                       // 000000003C9C: 7E0E4107
	v_add_f32_e64 v4, v4, 1.0                                  // 000000003CA0: D1010004 0001E504
	v_add_f32_e64 v5, v5, 1.0                                  // 000000003CA8: D1010005 0001E505
	v_add_f32_e64 v6, v6, 1.0                                  // 000000003CB0: D1010006 0001E506
	v_add_f32_e64 v7, v7, 1.0                                  // 000000003CB8: D1010007 0001E507
	v_rcp_f32_e32 v4, v4                                       // 000000003CC0: 7E084504
	v_rcp_f32_e32 v5, v5                                       // 000000003CC4: 7E0A4505
	v_rcp_f32_e32 v6, v6                                       // 000000003CC8: 7E0C4506
	v_rcp_f32_e32 v7, v7                                       // 000000003CCC: 7E0E4507
	v_mul_f32_e32 v48, v48, v4                                 // 000000003CD0: 0A600930
	v_mul_f32_e32 v49, v49, v5                                 // 000000003CD4: 0A620B31
	v_mul_f32_e32 v50, v50, v6                                 // 000000003CD8: 0A640D32
	v_mul_f32_e32 v51, v51, v7                                 // 000000003CDC: 0A660F33
	v_mul_f32_e32 v48, v48, v80                                // 000000003CE0: 0A60A130
	v_mul_f32_e32 v49, v49, v81                                // 000000003CE4: 0A62A331
	v_mul_f32_e32 v50, v50, v82                                // 000000003CE8: 0A64A532
	v_mul_f32_e32 v51, v51, v83                                // 000000003CEC: 0A66A733
	v_pk_mul_f32 v[4:5], v[52:53], v[52:53]                    // 000000003CF0: D3B14004 18026934
	v_pk_mul_f32 v[6:7], v[54:55], v[54:55]                    // 000000003CF8: D3B14006 18026D36
	v_pk_fma_f32 v[4:5], v[4:5], s[78:79], v[8:9]              // 000000003D00: D3B04004 1C209D04
	v_pk_fma_f32 v[6:7], v[6:7], s[78:79], v[8:9]              // 000000003D08: D3B04006 1C209D06
	v_pk_mul_f32 v[4:5], v[4:5], v[52:53]                      // 000000003D10: D3B14004 18026904
	v_pk_mul_f32 v[6:7], v[6:7], v[54:55]                      // 000000003D18: D3B14006 18026D06
	v_pk_mul_f32 v[4:5], v[4:5], s[60:61]                      // 000000003D20: D3B14004 18007904
	v_pk_mul_f32 v[6:7], v[6:7], s[60:61]                      // 000000003D28: D3B14006 18007906
	v_exp_f32_e32 v4, v4                                       // 000000003D30: 7E084104
	v_exp_f32_e32 v5, v5                                       // 000000003D34: 7E0A4105
	v_exp_f32_e32 v6, v6                                       // 000000003D38: 7E0C4106
	v_exp_f32_e32 v7, v7                                       // 000000003D3C: 7E0E4107
	v_add_f32_e64 v4, v4, 1.0                                  // 000000003D40: D1010004 0001E504
	v_add_f32_e64 v5, v5, 1.0                                  // 000000003D48: D1010005 0001E505
	v_add_f32_e64 v6, v6, 1.0                                  // 000000003D50: D1010006 0001E506
	v_add_f32_e64 v7, v7, 1.0                                  // 000000003D58: D1010007 0001E507
	v_rcp_f32_e32 v4, v4                                       // 000000003D60: 7E084504
	v_rcp_f32_e32 v5, v5                                       // 000000003D64: 7E0A4505
	v_rcp_f32_e32 v6, v6                                       // 000000003D68: 7E0C4506
	v_rcp_f32_e32 v7, v7                                       // 000000003D6C: 7E0E4507
	v_mul_f32_e32 v52, v52, v4                                 // 000000003D70: 0A680934
	v_mul_f32_e32 v53, v53, v5                                 // 000000003D74: 0A6A0B35
	v_mul_f32_e32 v54, v54, v6                                 // 000000003D78: 0A6C0D36
	v_mul_f32_e32 v55, v55, v7                                 // 000000003D7C: 0A6E0F37
	v_mul_f32_e32 v52, v52, v84                                // 000000003D80: 0A68A934
	v_mul_f32_e32 v53, v53, v85                                // 000000003D84: 0A6AAB35
	v_mul_f32_e32 v54, v54, v86                                // 000000003D88: 0A6CAD36
	v_mul_f32_e32 v55, v55, v87                                // 000000003D8C: 0A6EAF37
	v_pk_mul_f32 v[4:5], v[56:57], v[56:57]                    // 000000003D90: D3B14004 18027138
	v_pk_mul_f32 v[6:7], v[58:59], v[58:59]                    // 000000003D98: D3B14006 1802753A
	v_pk_fma_f32 v[4:5], v[4:5], s[78:79], v[8:9]              // 000000003DA0: D3B04004 1C209D04
	v_pk_fma_f32 v[6:7], v[6:7], s[78:79], v[8:9]              // 000000003DA8: D3B04006 1C209D06
	v_pk_mul_f32 v[4:5], v[4:5], v[56:57]                      // 000000003DB0: D3B14004 18027104
	v_pk_mul_f32 v[6:7], v[6:7], v[58:59]                      // 000000003DB8: D3B14006 18027506
	v_pk_mul_f32 v[4:5], v[4:5], s[60:61]                      // 000000003DC0: D3B14004 18007904
	v_pk_mul_f32 v[6:7], v[6:7], s[60:61]                      // 000000003DC8: D3B14006 18007906
	v_exp_f32_e32 v4, v4                                       // 000000003DD0: 7E084104
	v_exp_f32_e32 v5, v5                                       // 000000003DD4: 7E0A4105
	v_exp_f32_e32 v6, v6                                       // 000000003DD8: 7E0C4106
	v_exp_f32_e32 v7, v7                                       // 000000003DDC: 7E0E4107
	v_add_f32_e64 v4, v4, 1.0                                  // 000000003DE0: D1010004 0001E504
	v_add_f32_e64 v5, v5, 1.0                                  // 000000003DE8: D1010005 0001E505
	v_add_f32_e64 v6, v6, 1.0                                  // 000000003DF0: D1010006 0001E506
	v_add_f32_e64 v7, v7, 1.0                                  // 000000003DF8: D1010007 0001E507
	v_rcp_f32_e32 v4, v4                                       // 000000003E00: 7E084504
	v_rcp_f32_e32 v5, v5                                       // 000000003E04: 7E0A4505
	v_rcp_f32_e32 v6, v6                                       // 000000003E08: 7E0C4506
	v_rcp_f32_e32 v7, v7                                       // 000000003E0C: 7E0E4507
	v_mul_f32_e32 v56, v56, v4                                 // 000000003E10: 0A700938
	v_mul_f32_e32 v57, v57, v5                                 // 000000003E14: 0A720B39
	v_mul_f32_e32 v58, v58, v6                                 // 000000003E18: 0A740D3A
	v_mul_f32_e32 v59, v59, v7                                 // 000000003E1C: 0A760F3B
	v_mul_f32_e32 v56, v56, v88                                // 000000003E20: 0A70B138
	v_mul_f32_e32 v57, v57, v89                                // 000000003E24: 0A72B339
	v_mul_f32_e32 v58, v58, v90                                // 000000003E28: 0A74B53A
	v_mul_f32_e32 v59, v59, v91                                // 000000003E2C: 0A76B73B
	v_pk_mul_f32 v[4:5], v[60:61], v[60:61]                    // 000000003E30: D3B14004 1802793C
	v_pk_mul_f32 v[6:7], v[62:63], v[62:63]                    // 000000003E38: D3B14006 18027D3E
	v_pk_fma_f32 v[4:5], v[4:5], s[78:79], v[8:9]              // 000000003E40: D3B04004 1C209D04
	v_pk_fma_f32 v[6:7], v[6:7], s[78:79], v[8:9]              // 000000003E48: D3B04006 1C209D06
	v_pk_mul_f32 v[4:5], v[4:5], v[60:61]                      // 000000003E50: D3B14004 18027904
	v_pk_mul_f32 v[6:7], v[6:7], v[62:63]                      // 000000003E58: D3B14006 18027D06
	v_pk_mul_f32 v[4:5], v[4:5], s[60:61]                      // 000000003E60: D3B14004 18007904
	v_pk_mul_f32 v[6:7], v[6:7], s[60:61]                      // 000000003E68: D3B14006 18007906
	v_exp_f32_e32 v4, v4                                       // 000000003E70: 7E084104
	v_exp_f32_e32 v5, v5                                       // 000000003E74: 7E0A4105
	v_exp_f32_e32 v6, v6                                       // 000000003E78: 7E0C4106
	v_exp_f32_e32 v7, v7                                       // 000000003E7C: 7E0E4107
	v_add_f32_e64 v4, v4, 1.0                                  // 000000003E80: D1010004 0001E504
	v_add_f32_e64 v5, v5, 1.0                                  // 000000003E88: D1010005 0001E505
	v_add_f32_e64 v6, v6, 1.0                                  // 000000003E90: D1010006 0001E506
	v_add_f32_e64 v7, v7, 1.0                                  // 000000003E98: D1010007 0001E507
	v_rcp_f32_e32 v4, v4                                       // 000000003EA0: 7E084504
	v_rcp_f32_e32 v5, v5                                       // 000000003EA4: 7E0A4505
	v_rcp_f32_e32 v6, v6                                       // 000000003EA8: 7E0C4506
	v_rcp_f32_e32 v7, v7                                       // 000000003EAC: 7E0E4507
	v_mul_f32_e32 v60, v60, v4                                 // 000000003EB0: 0A78093C
	v_mul_f32_e32 v61, v61, v5                                 // 000000003EB4: 0A7A0B3D
	v_mul_f32_e32 v62, v62, v6                                 // 000000003EB8: 0A7C0D3E
	v_mul_f32_e32 v63, v63, v7                                 // 000000003EBC: 0A7E0F3F
	v_mul_f32_e32 v60, v60, v92                                // 000000003EC0: 0A78B93C
	v_mul_f32_e32 v61, v61, v93                                // 000000003EC4: 0A7ABB3D
	v_mul_f32_e32 v62, v62, v94                                // 000000003EC8: 0A7CBD3E
	v_mul_f32_e32 v63, v63, v95                                // 000000003ECC: 0A7EBF3F
	v_pk_mul_f32 v[4:5], v[64:65], v[64:65]                    // 000000003ED0: D3B14004 18028140
	v_pk_mul_f32 v[6:7], v[66:67], v[66:67]                    // 000000003ED8: D3B14006 18028542
	v_pk_fma_f32 v[4:5], v[4:5], s[78:79], v[8:9]              // 000000003EE0: D3B04004 1C209D04
	v_pk_fma_f32 v[6:7], v[6:7], s[78:79], v[8:9]              // 000000003EE8: D3B04006 1C209D06
	v_pk_mul_f32 v[4:5], v[4:5], v[64:65]                      // 000000003EF0: D3B14004 18028104
	v_pk_mul_f32 v[6:7], v[6:7], v[66:67]                      // 000000003EF8: D3B14006 18028506
	v_pk_mul_f32 v[4:5], v[4:5], s[60:61]                      // 000000003F00: D3B14004 18007904
	v_pk_mul_f32 v[6:7], v[6:7], s[60:61]                      // 000000003F08: D3B14006 18007906
	v_exp_f32_e32 v4, v4                                       // 000000003F10: 7E084104
	v_exp_f32_e32 v5, v5                                       // 000000003F14: 7E0A4105
	v_exp_f32_e32 v6, v6                                       // 000000003F18: 7E0C4106
	v_exp_f32_e32 v7, v7                                       // 000000003F1C: 7E0E4107
	v_add_f32_e64 v4, v4, 1.0                                  // 000000003F20: D1010004 0001E504
	v_add_f32_e64 v5, v5, 1.0                                  // 000000003F28: D1010005 0001E505
	v_add_f32_e64 v6, v6, 1.0                                  // 000000003F30: D1010006 0001E506
	v_add_f32_e64 v7, v7, 1.0                                  // 000000003F38: D1010007 0001E507
	v_rcp_f32_e32 v4, v4                                       // 000000003F40: 7E084504
	v_rcp_f32_e32 v5, v5                                       // 000000003F44: 7E0A4505
	v_rcp_f32_e32 v6, v6                                       // 000000003F48: 7E0C4506
	v_rcp_f32_e32 v7, v7                                       // 000000003F4C: 7E0E4507
	v_mul_f32_e32 v64, v64, v4                                 // 000000003F50: 0A800940
	v_mul_f32_e32 v65, v65, v5                                 // 000000003F54: 0A820B41
	v_mul_f32_e32 v66, v66, v6                                 // 000000003F58: 0A840D42
	v_mul_f32_e32 v67, v67, v7                                 // 000000003F5C: 0A860F43
	v_mul_f32_e32 v64, v64, v96                                // 000000003F60: 0A80C140
	v_mul_f32_e32 v65, v65, v97                                // 000000003F64: 0A82C341
	v_mul_f32_e32 v66, v66, v98                                // 000000003F68: 0A84C542
	v_mul_f32_e32 v67, v67, v99                                // 000000003F6C: 0A86C743
	v_pk_mul_f32 v[4:5], v[68:69], v[68:69]                    // 000000003F70: D3B14004 18028944
	v_pk_mul_f32 v[6:7], v[70:71], v[70:71]                    // 000000003F78: D3B14006 18028D46
	v_pk_fma_f32 v[4:5], v[4:5], s[78:79], v[8:9]              // 000000003F80: D3B04004 1C209D04
	v_pk_fma_f32 v[6:7], v[6:7], s[78:79], v[8:9]              // 000000003F88: D3B04006 1C209D06
	v_pk_mul_f32 v[4:5], v[4:5], v[68:69]                      // 000000003F90: D3B14004 18028904
	v_pk_mul_f32 v[6:7], v[6:7], v[70:71]                      // 000000003F98: D3B14006 18028D06
	v_pk_mul_f32 v[4:5], v[4:5], s[60:61]                      // 000000003FA0: D3B14004 18007904
	v_pk_mul_f32 v[6:7], v[6:7], s[60:61]                      // 000000003FA8: D3B14006 18007906
	v_exp_f32_e32 v4, v4                                       // 000000003FB0: 7E084104
	v_exp_f32_e32 v5, v5                                       // 000000003FB4: 7E0A4105
	v_exp_f32_e32 v6, v6                                       // 000000003FB8: 7E0C4106
	v_exp_f32_e32 v7, v7                                       // 000000003FBC: 7E0E4107
	v_add_f32_e64 v4, v4, 1.0                                  // 000000003FC0: D1010004 0001E504
	v_add_f32_e64 v5, v5, 1.0                                  // 000000003FC8: D1010005 0001E505
	v_add_f32_e64 v6, v6, 1.0                                  // 000000003FD0: D1010006 0001E506
	v_add_f32_e64 v7, v7, 1.0                                  // 000000003FD8: D1010007 0001E507
	v_rcp_f32_e32 v4, v4                                       // 000000003FE0: 7E084504
	v_rcp_f32_e32 v5, v5                                       // 000000003FE4: 7E0A4505
	v_rcp_f32_e32 v6, v6                                       // 000000003FE8: 7E0C4506
	v_rcp_f32_e32 v7, v7                                       // 000000003FEC: 7E0E4507
	v_mul_f32_e32 v68, v68, v4                                 // 000000003FF0: 0A880944
	v_mul_f32_e32 v69, v69, v5                                 // 000000003FF4: 0A8A0B45
	v_mul_f32_e32 v70, v70, v6                                 // 000000003FF8: 0A8C0D46
	v_mul_f32_e32 v71, v71, v7                                 // 000000003FFC: 0A8E0F47
	v_mul_f32_e32 v68, v68, v100                               // 000000004000: 0A88C944
	v_mul_f32_e32 v69, v69, v101                               // 000000004004: 0A8ACB45
	v_mul_f32_e32 v70, v70, v102                               // 000000004008: 0A8CCD46
	v_mul_f32_e32 v71, v71, v103                               // 00000000400C: 0A8ECF47
	v_pk_mul_f32 v[4:5], v[72:73], v[72:73]                    // 000000004010: D3B14004 18029148
	v_pk_mul_f32 v[6:7], v[74:75], v[74:75]                    // 000000004018: D3B14006 1802954A
	v_pk_fma_f32 v[4:5], v[4:5], s[78:79], v[8:9]              // 000000004020: D3B04004 1C209D04
	v_pk_fma_f32 v[6:7], v[6:7], s[78:79], v[8:9]              // 000000004028: D3B04006 1C209D06
	v_pk_mul_f32 v[4:5], v[4:5], v[72:73]                      // 000000004030: D3B14004 18029104
	v_pk_mul_f32 v[6:7], v[6:7], v[74:75]                      // 000000004038: D3B14006 18029506
	v_pk_mul_f32 v[4:5], v[4:5], s[60:61]                      // 000000004040: D3B14004 18007904
	v_pk_mul_f32 v[6:7], v[6:7], s[60:61]                      // 000000004048: D3B14006 18007906
	v_exp_f32_e32 v4, v4                                       // 000000004050: 7E084104
	v_exp_f32_e32 v5, v5                                       // 000000004054: 7E0A4105
	v_exp_f32_e32 v6, v6                                       // 000000004058: 7E0C4106
	v_exp_f32_e32 v7, v7                                       // 00000000405C: 7E0E4107
	v_add_f32_e64 v4, v4, 1.0                                  // 000000004060: D1010004 0001E504
	v_add_f32_e64 v5, v5, 1.0                                  // 000000004068: D1010005 0001E505
	v_add_f32_e64 v6, v6, 1.0                                  // 000000004070: D1010006 0001E506
	v_add_f32_e64 v7, v7, 1.0                                  // 000000004078: D1010007 0001E507
	v_rcp_f32_e32 v4, v4                                       // 000000004080: 7E084504
	v_rcp_f32_e32 v5, v5                                       // 000000004084: 7E0A4505
	v_rcp_f32_e32 v6, v6                                       // 000000004088: 7E0C4506
	v_rcp_f32_e32 v7, v7                                       // 00000000408C: 7E0E4507
	v_mul_f32_e32 v72, v72, v4                                 // 000000004090: 0A900948
	v_mul_f32_e32 v73, v73, v5                                 // 000000004094: 0A920B49
	v_mul_f32_e32 v74, v74, v6                                 // 000000004098: 0A940D4A
	v_mul_f32_e32 v75, v75, v7                                 // 00000000409C: 0A960F4B
	v_mul_f32_e32 v72, v72, v104                               // 0000000040A0: 0A90D148
	v_mul_f32_e32 v73, v73, v105                               // 0000000040A4: 0A92D349
	v_mul_f32_e32 v74, v74, v106                               // 0000000040A8: 0A94D54A
	v_mul_f32_e32 v75, v75, v107                               // 0000000040AC: 0A96D74B
	s_branch label_06AD                                        // 0000000040B0: BF820100

00000000000040b4 <label_05AD>:
	v_mul_f32_e64 v4, -v44, s6                                 // 0000000040B4: D1050004 20000D2C
	v_mul_f32_e64 v5, -v45, s6                                 // 0000000040BC: D1050005 20000D2D
	v_mul_f32_e64 v6, -v46, s6                                 // 0000000040C4: D1050006 20000D2E
	v_mul_f32_e64 v7, -v47, s6                                 // 0000000040CC: D1050007 20000D2F
	v_exp_f32_e32 v4, v4                                       // 0000000040D4: 7E084104
	v_exp_f32_e32 v5, v5                                       // 0000000040D8: 7E0A4105
	v_exp_f32_e32 v6, v6                                       // 0000000040DC: 7E0C4106
	v_exp_f32_e32 v7, v7                                       // 0000000040E0: 7E0E4107
	v_add_f32_e64 v4, v4, 1.0                                  // 0000000040E4: D1010004 0001E504
	v_add_f32_e64 v5, v5, 1.0                                  // 0000000040EC: D1010005 0001E505
	v_add_f32_e64 v6, v6, 1.0                                  // 0000000040F4: D1010006 0001E506
	v_add_f32_e64 v7, v7, 1.0                                  // 0000000040FC: D1010007 0001E507
	v_rcp_f32_e32 v4, v4                                       // 000000004104: 7E084504
	v_rcp_f32_e32 v5, v5                                       // 000000004108: 7E0A4505
	v_rcp_f32_e32 v6, v6                                       // 00000000410C: 7E0C4506
	v_rcp_f32_e32 v7, v7                                       // 000000004110: 7E0E4507
	v_mul_f32_e32 v44, v44, v4                                 // 000000004114: 0A58092C
	v_mul_f32_e32 v45, v45, v5                                 // 000000004118: 0A5A0B2D
	v_mul_f32_e32 v46, v46, v6                                 // 00000000411C: 0A5C0D2E
	v_mul_f32_e32 v47, v47, v7                                 // 000000004120: 0A5E0F2F
	v_mul_f32_e32 v44, v44, v76                                // 000000004124: 0A58992C
	v_mul_f32_e32 v45, v45, v77                                // 000000004128: 0A5A9B2D
	v_mul_f32_e32 v46, v46, v78                                // 00000000412C: 0A5C9D2E
	v_mul_f32_e32 v47, v47, v79                                // 000000004130: 0A5E9F2F
	v_mul_f32_e64 v4, -v48, s6                                 // 000000004134: D1050004 20000D30
	v_mul_f32_e64 v5, -v49, s6                                 // 00000000413C: D1050005 20000D31
	v_mul_f32_e64 v6, -v50, s6                                 // 000000004144: D1050006 20000D32
	v_mul_f32_e64 v7, -v51, s6                                 // 00000000414C: D1050007 20000D33
	v_exp_f32_e32 v4, v4                                       // 000000004154: 7E084104
	v_exp_f32_e32 v5, v5                                       // 000000004158: 7E0A4105
	v_exp_f32_e32 v6, v6                                       // 00000000415C: 7E0C4106
	v_exp_f32_e32 v7, v7                                       // 000000004160: 7E0E4107
	v_add_f32_e64 v4, v4, 1.0                                  // 000000004164: D1010004 0001E504
	v_add_f32_e64 v5, v5, 1.0                                  // 00000000416C: D1010005 0001E505
	v_add_f32_e64 v6, v6, 1.0                                  // 000000004174: D1010006 0001E506
	v_add_f32_e64 v7, v7, 1.0                                  // 00000000417C: D1010007 0001E507
	v_rcp_f32_e32 v4, v4                                       // 000000004184: 7E084504
	v_rcp_f32_e32 v5, v5                                       // 000000004188: 7E0A4505
	v_rcp_f32_e32 v6, v6                                       // 00000000418C: 7E0C4506
	v_rcp_f32_e32 v7, v7                                       // 000000004190: 7E0E4507
	v_mul_f32_e32 v48, v48, v4                                 // 000000004194: 0A600930
	v_mul_f32_e32 v49, v49, v5                                 // 000000004198: 0A620B31
	v_mul_f32_e32 v50, v50, v6                                 // 00000000419C: 0A640D32
	v_mul_f32_e32 v51, v51, v7                                 // 0000000041A0: 0A660F33
	v_mul_f32_e32 v48, v48, v80                                // 0000000041A4: 0A60A130
	v_mul_f32_e32 v49, v49, v81                                // 0000000041A8: 0A62A331
	v_mul_f32_e32 v50, v50, v82                                // 0000000041AC: 0A64A532
	v_mul_f32_e32 v51, v51, v83                                // 0000000041B0: 0A66A733
	v_mul_f32_e64 v4, -v52, s6                                 // 0000000041B4: D1050004 20000D34
	v_mul_f32_e64 v5, -v53, s6                                 // 0000000041BC: D1050005 20000D35
	v_mul_f32_e64 v6, -v54, s6                                 // 0000000041C4: D1050006 20000D36
	v_mul_f32_e64 v7, -v55, s6                                 // 0000000041CC: D1050007 20000D37
	v_exp_f32_e32 v4, v4                                       // 0000000041D4: 7E084104
	v_exp_f32_e32 v5, v5                                       // 0000000041D8: 7E0A4105
	v_exp_f32_e32 v6, v6                                       // 0000000041DC: 7E0C4106
	v_exp_f32_e32 v7, v7                                       // 0000000041E0: 7E0E4107
	v_add_f32_e64 v4, v4, 1.0                                  // 0000000041E4: D1010004 0001E504
	v_add_f32_e64 v5, v5, 1.0                                  // 0000000041EC: D1010005 0001E505
	v_add_f32_e64 v6, v6, 1.0                                  // 0000000041F4: D1010006 0001E506
	v_add_f32_e64 v7, v7, 1.0                                  // 0000000041FC: D1010007 0001E507
	v_rcp_f32_e32 v4, v4                                       // 000000004204: 7E084504
	v_rcp_f32_e32 v5, v5                                       // 000000004208: 7E0A4505
	v_rcp_f32_e32 v6, v6                                       // 00000000420C: 7E0C4506
	v_rcp_f32_e32 v7, v7                                       // 000000004210: 7E0E4507
	v_mul_f32_e32 v52, v52, v4                                 // 000000004214: 0A680934
	v_mul_f32_e32 v53, v53, v5                                 // 000000004218: 0A6A0B35
	v_mul_f32_e32 v54, v54, v6                                 // 00000000421C: 0A6C0D36
	v_mul_f32_e32 v55, v55, v7                                 // 000000004220: 0A6E0F37
	v_mul_f32_e32 v52, v52, v84                                // 000000004224: 0A68A934
	v_mul_f32_e32 v53, v53, v85                                // 000000004228: 0A6AAB35
	v_mul_f32_e32 v54, v54, v86                                // 00000000422C: 0A6CAD36
	v_mul_f32_e32 v55, v55, v87                                // 000000004230: 0A6EAF37
	v_mul_f32_e64 v4, -v56, s6                                 // 000000004234: D1050004 20000D38
	v_mul_f32_e64 v5, -v57, s6                                 // 00000000423C: D1050005 20000D39
	v_mul_f32_e64 v6, -v58, s6                                 // 000000004244: D1050006 20000D3A
	v_mul_f32_e64 v7, -v59, s6                                 // 00000000424C: D1050007 20000D3B
	v_exp_f32_e32 v4, v4                                       // 000000004254: 7E084104
	v_exp_f32_e32 v5, v5                                       // 000000004258: 7E0A4105
	v_exp_f32_e32 v6, v6                                       // 00000000425C: 7E0C4106
	v_exp_f32_e32 v7, v7                                       // 000000004260: 7E0E4107
	v_add_f32_e64 v4, v4, 1.0                                  // 000000004264: D1010004 0001E504
	v_add_f32_e64 v5, v5, 1.0                                  // 00000000426C: D1010005 0001E505
	v_add_f32_e64 v6, v6, 1.0                                  // 000000004274: D1010006 0001E506
	v_add_f32_e64 v7, v7, 1.0                                  // 00000000427C: D1010007 0001E507
	v_rcp_f32_e32 v4, v4                                       // 000000004284: 7E084504
	v_rcp_f32_e32 v5, v5                                       // 000000004288: 7E0A4505
	v_rcp_f32_e32 v6, v6                                       // 00000000428C: 7E0C4506
	v_rcp_f32_e32 v7, v7                                       // 000000004290: 7E0E4507
	v_mul_f32_e32 v56, v56, v4                                 // 000000004294: 0A700938
	v_mul_f32_e32 v57, v57, v5                                 // 000000004298: 0A720B39
	v_mul_f32_e32 v58, v58, v6                                 // 00000000429C: 0A740D3A
	v_mul_f32_e32 v59, v59, v7                                 // 0000000042A0: 0A760F3B
	v_mul_f32_e32 v56, v56, v88                                // 0000000042A4: 0A70B138
	v_mul_f32_e32 v57, v57, v89                                // 0000000042A8: 0A72B339
	v_mul_f32_e32 v58, v58, v90                                // 0000000042AC: 0A74B53A
	v_mul_f32_e32 v59, v59, v91                                // 0000000042B0: 0A76B73B
	v_mul_f32_e64 v4, -v60, s6                                 // 0000000042B4: D1050004 20000D3C
	v_mul_f32_e64 v5, -v61, s6                                 // 0000000042BC: D1050005 20000D3D
	v_mul_f32_e64 v6, -v62, s6                                 // 0000000042C4: D1050006 20000D3E
	v_mul_f32_e64 v7, -v63, s6                                 // 0000000042CC: D1050007 20000D3F
	v_exp_f32_e32 v4, v4                                       // 0000000042D4: 7E084104
	v_exp_f32_e32 v5, v5                                       // 0000000042D8: 7E0A4105
	v_exp_f32_e32 v6, v6                                       // 0000000042DC: 7E0C4106
	v_exp_f32_e32 v7, v7                                       // 0000000042E0: 7E0E4107
	v_add_f32_e64 v4, v4, 1.0                                  // 0000000042E4: D1010004 0001E504
	v_add_f32_e64 v5, v5, 1.0                                  // 0000000042EC: D1010005 0001E505
	v_add_f32_e64 v6, v6, 1.0                                  // 0000000042F4: D1010006 0001E506
	v_add_f32_e64 v7, v7, 1.0                                  // 0000000042FC: D1010007 0001E507
	v_rcp_f32_e32 v4, v4                                       // 000000004304: 7E084504
	v_rcp_f32_e32 v5, v5                                       // 000000004308: 7E0A4505
	v_rcp_f32_e32 v6, v6                                       // 00000000430C: 7E0C4506
	v_rcp_f32_e32 v7, v7                                       // 000000004310: 7E0E4507
	v_mul_f32_e32 v60, v60, v4                                 // 000000004314: 0A78093C
	v_mul_f32_e32 v61, v61, v5                                 // 000000004318: 0A7A0B3D
	v_mul_f32_e32 v62, v62, v6                                 // 00000000431C: 0A7C0D3E
	v_mul_f32_e32 v63, v63, v7                                 // 000000004320: 0A7E0F3F
	v_mul_f32_e32 v60, v60, v92                                // 000000004324: 0A78B93C
	v_mul_f32_e32 v61, v61, v93                                // 000000004328: 0A7ABB3D
	v_mul_f32_e32 v62, v62, v94                                // 00000000432C: 0A7CBD3E
	v_mul_f32_e32 v63, v63, v95                                // 000000004330: 0A7EBF3F
	v_mul_f32_e64 v4, -v64, s6                                 // 000000004334: D1050004 20000D40
	v_mul_f32_e64 v5, -v65, s6                                 // 00000000433C: D1050005 20000D41
	v_mul_f32_e64 v6, -v66, s6                                 // 000000004344: D1050006 20000D42
	v_mul_f32_e64 v7, -v67, s6                                 // 00000000434C: D1050007 20000D43
	v_exp_f32_e32 v4, v4                                       // 000000004354: 7E084104
	v_exp_f32_e32 v5, v5                                       // 000000004358: 7E0A4105
	v_exp_f32_e32 v6, v6                                       // 00000000435C: 7E0C4106
	v_exp_f32_e32 v7, v7                                       // 000000004360: 7E0E4107
	v_add_f32_e64 v4, v4, 1.0                                  // 000000004364: D1010004 0001E504
	v_add_f32_e64 v5, v5, 1.0                                  // 00000000436C: D1010005 0001E505
	v_add_f32_e64 v6, v6, 1.0                                  // 000000004374: D1010006 0001E506
	v_add_f32_e64 v7, v7, 1.0                                  // 00000000437C: D1010007 0001E507
	v_rcp_f32_e32 v4, v4                                       // 000000004384: 7E084504
	v_rcp_f32_e32 v5, v5                                       // 000000004388: 7E0A4505
	v_rcp_f32_e32 v6, v6                                       // 00000000438C: 7E0C4506
	v_rcp_f32_e32 v7, v7                                       // 000000004390: 7E0E4507
	v_mul_f32_e32 v64, v64, v4                                 // 000000004394: 0A800940
	v_mul_f32_e32 v65, v65, v5                                 // 000000004398: 0A820B41
	v_mul_f32_e32 v66, v66, v6                                 // 00000000439C: 0A840D42
	v_mul_f32_e32 v67, v67, v7                                 // 0000000043A0: 0A860F43
	v_mul_f32_e32 v64, v64, v96                                // 0000000043A4: 0A80C140
	v_mul_f32_e32 v65, v65, v97                                // 0000000043A8: 0A82C341
	v_mul_f32_e32 v66, v66, v98                                // 0000000043AC: 0A84C542
	v_mul_f32_e32 v67, v67, v99                                // 0000000043B0: 0A86C743
	v_mul_f32_e64 v4, -v68, s6                                 // 0000000043B4: D1050004 20000D44
	v_mul_f32_e64 v5, -v69, s6                                 // 0000000043BC: D1050005 20000D45
	v_mul_f32_e64 v6, -v70, s6                                 // 0000000043C4: D1050006 20000D46
	v_mul_f32_e64 v7, -v71, s6                                 // 0000000043CC: D1050007 20000D47
	v_exp_f32_e32 v4, v4                                       // 0000000043D4: 7E084104
	v_exp_f32_e32 v5, v5                                       // 0000000043D8: 7E0A4105
	v_exp_f32_e32 v6, v6                                       // 0000000043DC: 7E0C4106
	v_exp_f32_e32 v7, v7                                       // 0000000043E0: 7E0E4107
	v_add_f32_e64 v4, v4, 1.0                                  // 0000000043E4: D1010004 0001E504
	v_add_f32_e64 v5, v5, 1.0                                  // 0000000043EC: D1010005 0001E505
	v_add_f32_e64 v6, v6, 1.0                                  // 0000000043F4: D1010006 0001E506
	v_add_f32_e64 v7, v7, 1.0                                  // 0000000043FC: D1010007 0001E507
	v_rcp_f32_e32 v4, v4                                       // 000000004404: 7E084504
	v_rcp_f32_e32 v5, v5                                       // 000000004408: 7E0A4505
	v_rcp_f32_e32 v6, v6                                       // 00000000440C: 7E0C4506
	v_rcp_f32_e32 v7, v7                                       // 000000004410: 7E0E4507
	v_mul_f32_e32 v68, v68, v4                                 // 000000004414: 0A880944
	v_mul_f32_e32 v69, v69, v5                                 // 000000004418: 0A8A0B45
	v_mul_f32_e32 v70, v70, v6                                 // 00000000441C: 0A8C0D46
	v_mul_f32_e32 v71, v71, v7                                 // 000000004420: 0A8E0F47
	v_mul_f32_e32 v68, v68, v100                               // 000000004424: 0A88C944
	v_mul_f32_e32 v69, v69, v101                               // 000000004428: 0A8ACB45
	v_mul_f32_e32 v70, v70, v102                               // 00000000442C: 0A8CCD46
	v_mul_f32_e32 v71, v71, v103                               // 000000004430: 0A8ECF47
	v_mul_f32_e64 v4, -v72, s6                                 // 000000004434: D1050004 20000D48
	v_mul_f32_e64 v5, -v73, s6                                 // 00000000443C: D1050005 20000D49
	v_mul_f32_e64 v6, -v74, s6                                 // 000000004444: D1050006 20000D4A
	v_mul_f32_e64 v7, -v75, s6                                 // 00000000444C: D1050007 20000D4B
	v_exp_f32_e32 v4, v4                                       // 000000004454: 7E084104
	v_exp_f32_e32 v5, v5                                       // 000000004458: 7E0A4105
	v_exp_f32_e32 v6, v6                                       // 00000000445C: 7E0C4106
	v_exp_f32_e32 v7, v7                                       // 000000004460: 7E0E4107
	v_add_f32_e64 v4, v4, 1.0                                  // 000000004464: D1010004 0001E504
	v_add_f32_e64 v5, v5, 1.0                                  // 00000000446C: D1010005 0001E505
	v_add_f32_e64 v6, v6, 1.0                                  // 000000004474: D1010006 0001E506
	v_add_f32_e64 v7, v7, 1.0                                  // 00000000447C: D1010007 0001E507
	v_rcp_f32_e32 v4, v4                                       // 000000004484: 7E084504
	v_rcp_f32_e32 v5, v5                                       // 000000004488: 7E0A4505
	v_rcp_f32_e32 v6, v6                                       // 00000000448C: 7E0C4506
	v_rcp_f32_e32 v7, v7                                       // 000000004490: 7E0E4507
	v_mul_f32_e32 v72, v72, v4                                 // 000000004494: 0A900948
	v_mul_f32_e32 v73, v73, v5                                 // 000000004498: 0A920B49
	v_mul_f32_e32 v74, v74, v6                                 // 00000000449C: 0A940D4A
	v_mul_f32_e32 v75, v75, v7                                 // 0000000044A0: 0A960F4B
	v_mul_f32_e32 v72, v72, v104                               // 0000000044A4: 0A90D148
	v_mul_f32_e32 v73, v73, v105                               // 0000000044A8: 0A92D349
	v_mul_f32_e32 v74, v74, v106                               // 0000000044AC: 0A94D54A
	v_mul_f32_e32 v75, v75, v107                               // 0000000044B0: 0A96D74B

00000000000044b4 <label_06AD>:
	v_cmp_u_f32_e64 s[46:47], v44, v44                         // 0000000044B4: D048002E 0002592C
	v_add3_u32 v16, v44, v19, 1                                // 0000000044BC: D1FF0010 0206272C
	v_cndmask_b32_e64 v4, v16, v18, s[46:47]                   // 0000000044C4: D1000004 00BA2510
	v_cmp_u_f32_e64 s[46:47], v45, v45                         // 0000000044CC: D048002E 00025B2D
	v_add3_u32 v16, v45, v19, 1                                // 0000000044D4: D1FF0010 0206272D
	v_cndmask_b32_e64 v5, v16, v18, s[46:47]                   // 0000000044DC: D1000005 00BA2510
	v_perm_b32 v44, v5, v4, s52                                // 0000000044E4: D1ED002C 00D20905
	v_cmp_u_f32_e64 s[46:47], v46, v46                         // 0000000044EC: D048002E 00025D2E
	v_add3_u32 v16, v46, v19, 1                                // 0000000044F4: D1FF0010 0206272E
	v_cndmask_b32_e64 v4, v16, v18, s[46:47]                   // 0000000044FC: D1000004 00BA2510
	v_cmp_u_f32_e64 s[46:47], v47, v47                         // 000000004504: D048002E 00025F2F
	v_add3_u32 v16, v47, v19, 1                                // 00000000450C: D1FF0010 0206272F
	v_cndmask_b32_e64 v5, v16, v18, s[46:47]                   // 000000004514: D1000005 00BA2510
	v_perm_b32 v45, v5, v4, s52                                // 00000000451C: D1ED002D 00D20905
	v_cmp_u_f32_e64 s[46:47], v48, v48                         // 000000004524: D048002E 00026130
	v_add3_u32 v16, v48, v19, 1                                // 00000000452C: D1FF0010 02062730
	v_cndmask_b32_e64 v4, v16, v18, s[46:47]                   // 000000004534: D1000004 00BA2510
	v_cmp_u_f32_e64 s[46:47], v49, v49                         // 00000000453C: D048002E 00026331
	v_add3_u32 v16, v49, v19, 1                                // 000000004544: D1FF0010 02062731
	v_cndmask_b32_e64 v5, v16, v18, s[46:47]                   // 00000000454C: D1000005 00BA2510
	v_perm_b32 v46, v5, v4, s52                                // 000000004554: D1ED002E 00D20905
	v_cmp_u_f32_e64 s[46:47], v50, v50                         // 00000000455C: D048002E 00026532
	v_add3_u32 v16, v50, v19, 1                                // 000000004564: D1FF0010 02062732
	v_cndmask_b32_e64 v4, v16, v18, s[46:47]                   // 00000000456C: D1000004 00BA2510
	v_cmp_u_f32_e64 s[46:47], v51, v51                         // 000000004574: D048002E 00026733
	v_add3_u32 v16, v51, v19, 1                                // 00000000457C: D1FF0010 02062733
	v_cndmask_b32_e64 v5, v16, v18, s[46:47]                   // 000000004584: D1000005 00BA2510
	v_perm_b32 v47, v5, v4, s52                                // 00000000458C: D1ED002F 00D20905
	v_cmp_u_f32_e64 s[46:47], v52, v52                         // 000000004594: D048002E 00026934
	v_add3_u32 v16, v52, v19, 1                                // 00000000459C: D1FF0010 02062734
	v_cndmask_b32_e64 v4, v16, v18, s[46:47]                   // 0000000045A4: D1000004 00BA2510
	v_cmp_u_f32_e64 s[46:47], v53, v53                         // 0000000045AC: D048002E 00026B35
	v_add3_u32 v16, v53, v19, 1                                // 0000000045B4: D1FF0010 02062735
	v_cndmask_b32_e64 v5, v16, v18, s[46:47]                   // 0000000045BC: D1000005 00BA2510
	v_perm_b32 v48, v5, v4, s52                                // 0000000045C4: D1ED0030 00D20905
	v_cmp_u_f32_e64 s[46:47], v54, v54                         // 0000000045CC: D048002E 00026D36
	v_add3_u32 v16, v54, v19, 1                                // 0000000045D4: D1FF0010 02062736
	v_cndmask_b32_e64 v4, v16, v18, s[46:47]                   // 0000000045DC: D1000004 00BA2510
	v_cmp_u_f32_e64 s[46:47], v55, v55                         // 0000000045E4: D048002E 00026F37
	v_add3_u32 v16, v55, v19, 1                                // 0000000045EC: D1FF0010 02062737
	v_cndmask_b32_e64 v5, v16, v18, s[46:47]                   // 0000000045F4: D1000005 00BA2510
	v_perm_b32 v49, v5, v4, s52                                // 0000000045FC: D1ED0031 00D20905
	v_cmp_u_f32_e64 s[46:47], v56, v56                         // 000000004604: D048002E 00027138
	v_add3_u32 v16, v56, v19, 1                                // 00000000460C: D1FF0010 02062738
	v_cndmask_b32_e64 v4, v16, v18, s[46:47]                   // 000000004614: D1000004 00BA2510
	v_cmp_u_f32_e64 s[46:47], v57, v57                         // 00000000461C: D048002E 00027339
	v_add3_u32 v16, v57, v19, 1                                // 000000004624: D1FF0010 02062739
	v_cndmask_b32_e64 v5, v16, v18, s[46:47]                   // 00000000462C: D1000005 00BA2510
	v_perm_b32 v50, v5, v4, s52                                // 000000004634: D1ED0032 00D20905
	v_cmp_u_f32_e64 s[46:47], v58, v58                         // 00000000463C: D048002E 0002753A
	v_add3_u32 v16, v58, v19, 1                                // 000000004644: D1FF0010 0206273A
	v_cndmask_b32_e64 v4, v16, v18, s[46:47]                   // 00000000464C: D1000004 00BA2510
	v_cmp_u_f32_e64 s[46:47], v59, v59                         // 000000004654: D048002E 0002773B
	v_add3_u32 v16, v59, v19, 1                                // 00000000465C: D1FF0010 0206273B
	v_cndmask_b32_e64 v5, v16, v18, s[46:47]                   // 000000004664: D1000005 00BA2510
	v_perm_b32 v51, v5, v4, s52                                // 00000000466C: D1ED0033 00D20905
	v_cmp_u_f32_e64 s[46:47], v60, v60                         // 000000004674: D048002E 0002793C
	v_add3_u32 v16, v60, v19, 1                                // 00000000467C: D1FF0010 0206273C
	v_cndmask_b32_e64 v4, v16, v18, s[46:47]                   // 000000004684: D1000004 00BA2510
	v_cmp_u_f32_e64 s[46:47], v61, v61                         // 00000000468C: D048002E 00027B3D
	v_add3_u32 v16, v61, v19, 1                                // 000000004694: D1FF0010 0206273D
	v_cndmask_b32_e64 v5, v16, v18, s[46:47]                   // 00000000469C: D1000005 00BA2510
	v_perm_b32 v52, v5, v4, s52                                // 0000000046A4: D1ED0034 00D20905
	v_cmp_u_f32_e64 s[46:47], v62, v62                         // 0000000046AC: D048002E 00027D3E
	v_add3_u32 v16, v62, v19, 1                                // 0000000046B4: D1FF0010 0206273E
	v_cndmask_b32_e64 v4, v16, v18, s[46:47]                   // 0000000046BC: D1000004 00BA2510
	v_cmp_u_f32_e64 s[46:47], v63, v63                         // 0000000046C4: D048002E 00027F3F
	v_add3_u32 v16, v63, v19, 1                                // 0000000046CC: D1FF0010 0206273F
	v_cndmask_b32_e64 v5, v16, v18, s[46:47]                   // 0000000046D4: D1000005 00BA2510
	v_perm_b32 v53, v5, v4, s52                                // 0000000046DC: D1ED0035 00D20905
	v_cmp_u_f32_e64 s[46:47], v64, v64                         // 0000000046E4: D048002E 00028140
	v_add3_u32 v16, v64, v19, 1                                // 0000000046EC: D1FF0010 02062740
	v_cndmask_b32_e64 v4, v16, v18, s[46:47]                   // 0000000046F4: D1000004 00BA2510
	v_cmp_u_f32_e64 s[46:47], v65, v65                         // 0000000046FC: D048002E 00028341
	v_add3_u32 v16, v65, v19, 1                                // 000000004704: D1FF0010 02062741
	v_cndmask_b32_e64 v5, v16, v18, s[46:47]                   // 00000000470C: D1000005 00BA2510
	v_perm_b32 v54, v5, v4, s52                                // 000000004714: D1ED0036 00D20905
	v_cmp_u_f32_e64 s[46:47], v66, v66                         // 00000000471C: D048002E 00028542
	v_add3_u32 v16, v66, v19, 1                                // 000000004724: D1FF0010 02062742
	v_cndmask_b32_e64 v4, v16, v18, s[46:47]                   // 00000000472C: D1000004 00BA2510
	v_cmp_u_f32_e64 s[46:47], v67, v67                         // 000000004734: D048002E 00028743
	v_add3_u32 v16, v67, v19, 1                                // 00000000473C: D1FF0010 02062743
	v_cndmask_b32_e64 v5, v16, v18, s[46:47]                   // 000000004744: D1000005 00BA2510
	v_perm_b32 v55, v5, v4, s52                                // 00000000474C: D1ED0037 00D20905
	v_cmp_u_f32_e64 s[46:47], v68, v68                         // 000000004754: D048002E 00028944
	v_add3_u32 v16, v68, v19, 1                                // 00000000475C: D1FF0010 02062744
	v_cndmask_b32_e64 v4, v16, v18, s[46:47]                   // 000000004764: D1000004 00BA2510
	v_cmp_u_f32_e64 s[46:47], v69, v69                         // 00000000476C: D048002E 00028B45
	v_add3_u32 v16, v69, v19, 1                                // 000000004774: D1FF0010 02062745
	v_cndmask_b32_e64 v5, v16, v18, s[46:47]                   // 00000000477C: D1000005 00BA2510
	v_perm_b32 v56, v5, v4, s52                                // 000000004784: D1ED0038 00D20905
	v_cmp_u_f32_e64 s[46:47], v70, v70                         // 00000000478C: D048002E 00028D46
	v_add3_u32 v16, v70, v19, 1                                // 000000004794: D1FF0010 02062746
	v_cndmask_b32_e64 v4, v16, v18, s[46:47]                   // 00000000479C: D1000004 00BA2510
	v_cmp_u_f32_e64 s[46:47], v71, v71                         // 0000000047A4: D048002E 00028F47
	v_add3_u32 v16, v71, v19, 1                                // 0000000047AC: D1FF0010 02062747
	v_cndmask_b32_e64 v5, v16, v18, s[46:47]                   // 0000000047B4: D1000005 00BA2510
	v_perm_b32 v57, v5, v4, s52                                // 0000000047BC: D1ED0039 00D20905
	v_cmp_u_f32_e64 s[46:47], v72, v72                         // 0000000047C4: D048002E 00029148
	v_add3_u32 v16, v72, v19, 1                                // 0000000047CC: D1FF0010 02062748
	v_cndmask_b32_e64 v4, v16, v18, s[46:47]                   // 0000000047D4: D1000004 00BA2510
	v_cmp_u_f32_e64 s[46:47], v73, v73                         // 0000000047DC: D048002E 00029349
	v_add3_u32 v16, v73, v19, 1                                // 0000000047E4: D1FF0010 02062749
	v_cndmask_b32_e64 v5, v16, v18, s[46:47]                   // 0000000047EC: D1000005 00BA2510
	v_perm_b32 v58, v5, v4, s52                                // 0000000047F4: D1ED003A 00D20905
	v_cmp_u_f32_e64 s[46:47], v74, v74                         // 0000000047FC: D048002E 0002954A
	v_add3_u32 v16, v74, v19, 1                                // 000000004804: D1FF0010 0206274A
	v_cndmask_b32_e64 v4, v16, v18, s[46:47]                   // 00000000480C: D1000004 00BA2510
	v_cmp_u_f32_e64 s[46:47], v75, v75                         // 000000004814: D048002E 0002974B
	v_add3_u32 v16, v75, v19, 1                                // 00000000481C: D1FF0010 0206274B
	v_cndmask_b32_e64 v5, v16, v18, s[46:47]                   // 000000004824: D1000005 00BA2510
	v_perm_b32 v59, v5, v4, s52                                // 00000000482C: D1ED003B 00D20905
	ds_write_b64 v20, v[44:45]                                 // 000000004834: D89A0000 00002C14
	ds_write_b64 v20, v[46:47] offset:2176                     // 00000000483C: D89A0880 00002E14
	ds_write_b64 v20, v[48:49] offset:4352                     // 000000004844: D89A1100 00003014
	ds_write_b64 v20, v[50:51] offset:6528                     // 00000000484C: D89A1980 00003214
	ds_write_b64 v20, v[52:53] offset:8704                     // 000000004854: D89A2200 00003414
	ds_write_b64 v20, v[54:55] offset:10880                    // 00000000485C: D89A2A80 00003614
	ds_write_b64 v20, v[56:57] offset:13056                    // 000000004864: D89A3300 00003814
	ds_write_b64 v20, v[58:59] offset:15232                    // 00000000486C: D89A3B80 00003A14
	v_lshrrev_b32_e32 v4, 5, v0                                // 000000004874: 20080085
	v_xor_b32_e32 v5, 1, v4                                    // 000000004878: 2A0A0881
	s_mul_i32 s60, s65, 2                                      // 00000000487C: 923C8241
	s_cmp_eq_u32 s88, 0                                        // 000000004880: BF068058
	s_cselect_b32 s61, 1, 4                                    // 000000004884: 853D8481
	s_mul_i32 s60, s61, s60                                    // 000000004888: 923C3C3D
	v_readlane_b32 s82, v3, 0                                  // 00000000488C: D2890052 00010103
	s_lshr_b32 s61, s82, 24                                    // 000000004894: 8F3D9852
	s_and_b32 s82, s82, 0xffffff                               // 000000004898: 8652FF52 00FFFFFF
	s_mul_i32 s82, s82, s71                                    // 0000000048A0: 92524752
	s_mul_i32 s61, s60, s61                                    // 0000000048A4: 923D3D3C
	s_add_u32 s82, s82, s61                                    // 0000000048A8: 80523D52
	v_mul_lo_u32 v6, v5, s82                                   // 0000000048AC: D2850006 0000A505
	v_readlane_b32 s82, v3, 1                                  // 0000000048B4: D2890052 00010303
	s_lshr_b32 s61, s82, 24                                    // 0000000048BC: 8F3D9852
	s_and_b32 s82, s82, 0xffffff                               // 0000000048C0: 8652FF52 00FFFFFF
	s_mul_i32 s82, s82, s71                                    // 0000000048C8: 92524752
	s_mul_i32 s61, s60, s61                                    // 0000000048CC: 923D3D3C
	s_add_u32 s82, s82, s61                                    // 0000000048D0: 80523D52
	v_mul_lo_u32 v7, v4, s82                                   // 0000000048D4: D2850007 0000A504
	v_add_u32_e32 v33, v6, v7                                  // 0000000048DC: 68420F06
	v_readlane_b32 s82, v3, 2                                  // 0000000048E0: D2890052 00010503
	s_lshr_b32 s61, s82, 24                                    // 0000000048E8: 8F3D9852
	s_and_b32 s82, s82, 0xffffff                               // 0000000048EC: 8652FF52 00FFFFFF
	s_mul_i32 s82, s82, s71                                    // 0000000048F4: 92524752
	s_mul_i32 s61, s60, s61                                    // 0000000048F8: 923D3D3C
	s_add_u32 s82, s82, s61                                    // 0000000048FC: 80523D52
	v_mul_lo_u32 v6, v5, s82                                   // 000000004900: D2850006 0000A505
	v_readlane_b32 s82, v3, 3                                  // 000000004908: D2890052 00010703
	s_lshr_b32 s61, s82, 24                                    // 000000004910: 8F3D9852
	s_and_b32 s82, s82, 0xffffff                               // 000000004914: 8652FF52 00FFFFFF
	s_mul_i32 s82, s82, s71                                    // 00000000491C: 92524752
	s_mul_i32 s61, s60, s61                                    // 000000004920: 923D3D3C
	s_add_u32 s82, s82, s61                                    // 000000004924: 80523D52
	v_mul_lo_u32 v7, v4, s82                                   // 000000004928: D2850007 0000A504
	v_add_u32_e32 v34, v6, v7                                  // 000000004930: 68440F06
	v_and_b32_e32 v4, 31, v0                                   // 000000004934: 2608009F
	v_lshrrev_b32_e32 v4, 1, v4                                // 000000004938: 20080881
	s_cmp_eq_u32 s88, 0                                        // 00000000493C: BF068058
	s_cselect_b32 s61, 2, 4                                    // 000000004940: 853D8482
	v_mul_lo_u32 v4, v4, s61                                   // 000000004944: D2850004 00007B04
	v_and_b32_e64 v5, v0, 1                                    // 00000000494C: D1130005 00010300
	v_add_u32_e32 v4, v4, v5                                   // 000000004954: 68080B04
	v_lshlrev_b32_e32 v4, 2, v4                                // 000000004958: 24080882
	v_add_u32_e32 v33, v33, v4                                 // 00000000495C: 68420921
	v_add_u32_e32 v34, v34, v4                                 // 000000004960: 68440922
	s_waitcnt lgkmcnt(0)                                       // 000000004964: BF8CC07F
	s_barrier                                                  // 000000004968: BF8A0000
	ds_read_b32 v44, v21                                       // 00000000496C: D86C0000 2C000015
	ds_read_b32 v45, v21 offset:64                             // 000000004974: D86C0040 2D000015
	ds_read_b32 v46, v21 offset:2176                           // 00000000497C: D86C0880 2E000015
	ds_read_b32 v47, v21 offset:2240                           // 000000004984: D86C08C0 2F000015
	ds_read_b32 v48, v21 offset:4352                           // 00000000498C: D86C1100 30000015
	ds_read_b32 v49, v21 offset:4416                           // 000000004994: D86C1140 31000015
	ds_read_b32 v50, v21 offset:6528                           // 00000000499C: D86C1980 32000015
	ds_read_b32 v51, v21 offset:6592                           // 0000000049A4: D86C19C0 33000015
	ds_read_b32 v52, v21 offset:8704                           // 0000000049AC: D86C2200 34000015
	ds_read_b32 v53, v21 offset:8768                           // 0000000049B4: D86C2240 35000015
	ds_read_b32 v54, v21 offset:10880                          // 0000000049BC: D86C2A80 36000015
	ds_read_b32 v55, v21 offset:10944                          // 0000000049C4: D86C2AC0 37000015
	ds_read_b32 v56, v21 offset:13056                          // 0000000049CC: D86C3300 38000015
	ds_read_b32 v57, v21 offset:13120                          // 0000000049D4: D86C3340 39000015
	ds_read_b32 v58, v21 offset:15232                          // 0000000049DC: D86C3B80 3A000015
	ds_read_b32 v59, v21 offset:15296                          // 0000000049E4: D86C3BC0 3B000015
	s_waitcnt lgkmcnt(0)                                       // 0000000049EC: BF8CC07F
	s_mov_b32 s36, -1                                          // 0000000049F0: BEA400C1
	s_mov_b32 s37, -1                                          // 0000000049F4: BEA500C1
	v_mov_b32_e32 v7, 0                                        // 0000000049F8: 7E0E0280
	s_or_b32 s9, s9, 0x40000                                   // 0000000049FC: 8709FF09 00040000
	s_mov_b64 exec, s[36:37]                                   // 000000004A04: BEFE0124
	v_mov_b32_e32 v6, v33                                      // 000000004A08: 7E0C0321
	s_mov_b64 s[60:61], 0                                      // 000000004A0C: BEBC0180
	v_readlane_b32 s82, v3, 0                                  // 000000004A10: D2890052 00010103
	s_and_b32 s82, s82, 0xffffff                               // 000000004A18: 8652FF52 00FFFFFF
	s_cmp_lt_u32 s82, s66                                      // 000000004A20: BF0A4252
	s_cselect_b32 s20, s36, s60                                // 000000004A24: 85143C24
	v_readlane_b32 s82, v3, 1                                  // 000000004A28: D2890052 00010303
	s_and_b32 s82, s82, 0xffffff                               // 000000004A30: 8652FF52 00FFFFFF
	s_cmp_lt_u32 s82, s66                                      // 000000004A38: BF0A4252
	s_cselect_b32 s21, s36, s60                                // 000000004A3C: 85153C24
	s_mov_b64 exec, s[20:21]                                   // 000000004A40: BEFE0114
	buffer_store_dword v44, v6, s[8:11], 0 offen               // 000000004A44: E0701000 80022C06
	buffer_store_dword v46, v6, s[8:11], 0 offen offset:128    // 000000004A4C: E0701080 80022E06
	buffer_store_dword v48, v6, s[8:11], 0 offen offset:256    // 000000004A54: E0701100 80023006
	buffer_store_dword v50, v6, s[8:11], 0 offen offset:384    // 000000004A5C: E0701180 80023206
	buffer_store_dword v52, v6, s[8:11], 0 offen offset:512    // 000000004A64: E0701200 80023406
	buffer_store_dword v54, v6, s[8:11], 0 offen offset:640    // 000000004A6C: E0701280 80023606
	buffer_store_dword v56, v6, s[8:11], 0 offen offset:768    // 000000004A74: E0701300 80023806
	buffer_store_dword v58, v6, s[8:11], 0 offen offset:896    // 000000004A7C: E0701380 80023A06
	s_mov_b64 exec, s[36:37]                                   // 000000004A84: BEFE0124
	v_mov_b32_e32 v6, v34                                      // 000000004A88: 7E0C0322
	s_mov_b64 s[60:61], 0                                      // 000000004A8C: BEBC0180
	v_readlane_b32 s82, v3, 2                                  // 000000004A90: D2890052 00010503
	s_and_b32 s82, s82, 0xffffff                               // 000000004A98: 8652FF52 00FFFFFF
	s_cmp_lt_u32 s82, s66                                      // 000000004AA0: BF0A4252
	s_cselect_b32 s20, s36, s60                                // 000000004AA4: 85143C24
	v_readlane_b32 s82, v3, 3                                  // 000000004AA8: D2890052 00010703
	s_and_b32 s82, s82, 0xffffff                               // 000000004AB0: 8652FF52 00FFFFFF
	s_cmp_lt_u32 s82, s66                                      // 000000004AB8: BF0A4252
	s_cselect_b32 s21, s36, s60                                // 000000004ABC: 85153C24
	s_mov_b64 exec, s[20:21]                                   // 000000004AC0: BEFE0114
	buffer_store_dword v45, v6, s[8:11], 0 offen               // 000000004AC4: E0701000 80022D06
	buffer_store_dword v47, v6, s[8:11], 0 offen offset:128    // 000000004ACC: E0701080 80022F06
	buffer_store_dword v49, v6, s[8:11], 0 offen offset:256    // 000000004AD4: E0701100 80023106
	buffer_store_dword v51, v6, s[8:11], 0 offen offset:384    // 000000004ADC: E0701180 80023306
	buffer_store_dword v53, v6, s[8:11], 0 offen offset:512    // 000000004AE4: E0701200 80023506
	buffer_store_dword v55, v6, s[8:11], 0 offen offset:640    // 000000004AEC: E0701280 80023706
	buffer_store_dword v57, v6, s[8:11], 0 offen offset:768    // 000000004AF4: E0701300 80023906
	buffer_store_dword v59, v6, s[8:11], 0 offen offset:896    // 000000004AFC: E0701380 80023B06
	s_mov_b64 exec, s[36:37]                                   // 000000004B04: BEFE0124
	s_branch label_12E8                                        // 000000004B08: BF820AA2

0000000000004b0c <label_0843>:
	ds_write_b64 v20, v[44:45]                                 // 000000004B0C: D89A0000 00002C14
	ds_write_b64 v20, v[48:49] offset:2176                     // 000000004B14: D89A0880 00003014
	ds_write_b64 v20, v[52:53] offset:4352                     // 000000004B1C: D89A1100 00003414
	ds_write_b64 v20, v[56:57] offset:6528                     // 000000004B24: D89A1980 00003814
	ds_write_b64 v20, v[60:61] offset:8704                     // 000000004B2C: D89A2200 00003C14
	ds_write_b64 v20, v[64:65] offset:10880                    // 000000004B34: D89A2A80 00004014
	ds_write_b64 v20, v[68:69] offset:13056                    // 000000004B3C: D89A3300 00004414
	ds_write_b64 v20, v[72:73] offset:15232                    // 000000004B44: D89A3B80 00004814
	v_lshrrev_b32_e32 v4, 5, v0                                // 000000004B4C: 20080085
	v_xor_b32_e32 v5, 1, v4                                    // 000000004B50: 2A0A0881
	s_mul_i32 s60, s65, 2                                      // 000000004B54: 923C8241
	s_cmp_eq_u32 s88, 0                                        // 000000004B58: BF068058
	s_cselect_b32 s61, 1, 4                                    // 000000004B5C: 853D8481
	s_mul_i32 s60, s61, s60                                    // 000000004B60: 923C3C3D
	v_readlane_b32 s82, v3, 0                                  // 000000004B64: D2890052 00010103
	s_lshr_b32 s61, s82, 24                                    // 000000004B6C: 8F3D9852
	s_and_b32 s82, s82, 0xffffff                               // 000000004B70: 8652FF52 00FFFFFF
	s_mul_i32 s82, s82, s71                                    // 000000004B78: 92524752
	s_mul_i32 s61, s60, s61                                    // 000000004B7C: 923D3D3C
	s_add_u32 s82, s82, s61                                    // 000000004B80: 80523D52
	v_mul_lo_u32 v6, v5, s82                                   // 000000004B84: D2850006 0000A505
	v_readlane_b32 s82, v3, 1                                  // 000000004B8C: D2890052 00010303
	s_lshr_b32 s61, s82, 24                                    // 000000004B94: 8F3D9852
	s_and_b32 s82, s82, 0xffffff                               // 000000004B98: 8652FF52 00FFFFFF
	s_mul_i32 s82, s82, s71                                    // 000000004BA0: 92524752
	s_mul_i32 s61, s60, s61                                    // 000000004BA4: 923D3D3C
	s_add_u32 s82, s82, s61                                    // 000000004BA8: 80523D52
	v_mul_lo_u32 v7, v4, s82                                   // 000000004BAC: D2850007 0000A504
	v_add_u32_e32 v33, v6, v7                                  // 000000004BB4: 68420F06
	v_readlane_b32 s82, v3, 2                                  // 000000004BB8: D2890052 00010503
	s_lshr_b32 s61, s82, 24                                    // 000000004BC0: 8F3D9852
	s_and_b32 s82, s82, 0xffffff                               // 000000004BC4: 8652FF52 00FFFFFF
	s_mul_i32 s82, s82, s71                                    // 000000004BCC: 92524752
	s_mul_i32 s61, s60, s61                                    // 000000004BD0: 923D3D3C
	s_add_u32 s82, s82, s61                                    // 000000004BD4: 80523D52
	v_mul_lo_u32 v6, v5, s82                                   // 000000004BD8: D2850006 0000A505
	v_readlane_b32 s82, v3, 3                                  // 000000004BE0: D2890052 00010703
	s_lshr_b32 s61, s82, 24                                    // 000000004BE8: 8F3D9852
	s_and_b32 s82, s82, 0xffffff                               // 000000004BEC: 8652FF52 00FFFFFF
	s_mul_i32 s82, s82, s71                                    // 000000004BF4: 92524752
	s_mul_i32 s61, s60, s61                                    // 000000004BF8: 923D3D3C
	s_add_u32 s82, s82, s61                                    // 000000004BFC: 80523D52
	v_mul_lo_u32 v7, v4, s82                                   // 000000004C00: D2850007 0000A504
	v_add_u32_e32 v34, v6, v7                                  // 000000004C08: 68440F06
	v_and_b32_e32 v4, 31, v0                                   // 000000004C0C: 2608009F
	v_lshrrev_b32_e32 v4, 1, v4                                // 000000004C10: 20080881
	s_cmp_eq_u32 s88, 0                                        // 000000004C14: BF068058
	s_cselect_b32 s61, 2, 4                                    // 000000004C18: 853D8482
	v_mul_lo_u32 v4, v4, s61                                   // 000000004C1C: D2850004 00007B04
	v_and_b32_e64 v5, v0, 1                                    // 000000004C24: D1130005 00010300
	v_add_u32_e32 v4, v4, v5                                   // 000000004C2C: 68080B04
	v_lshlrev_b32_e32 v4, 2, v4                                // 000000004C30: 24080882
	v_add_u32_e32 v33, v33, v4                                 // 000000004C34: 68420921
	v_add_u32_e32 v34, v34, v4                                 // 000000004C38: 68440922
	s_waitcnt lgkmcnt(0)                                       // 000000004C3C: BF8CC07F
	s_barrier                                                  // 000000004C40: BF8A0000
	ds_read_b32 v44, v21                                       // 000000004C44: D86C0000 2C000015
	ds_read_b32 v45, v21 offset:64                             // 000000004C4C: D86C0040 2D000015
	ds_read_b32 v48, v21 offset:2176                           // 000000004C54: D86C0880 30000015
	ds_read_b32 v49, v21 offset:2240                           // 000000004C5C: D86C08C0 31000015
	ds_read_b32 v52, v21 offset:4352                           // 000000004C64: D86C1100 34000015
	ds_read_b32 v53, v21 offset:4416                           // 000000004C6C: D86C1140 35000015
	ds_read_b32 v56, v21 offset:6528                           // 000000004C74: D86C1980 38000015
	ds_read_b32 v57, v21 offset:6592                           // 000000004C7C: D86C19C0 39000015
	ds_read_b32 v60, v21 offset:8704                           // 000000004C84: D86C2200 3C000015
	ds_read_b32 v61, v21 offset:8768                           // 000000004C8C: D86C2240 3D000015
	ds_read_b32 v64, v21 offset:10880                          // 000000004C94: D86C2A80 40000015
	ds_read_b32 v65, v21 offset:10944                          // 000000004C9C: D86C2AC0 41000015
	ds_read_b32 v68, v21 offset:13056                          // 000000004CA4: D86C3300 44000015
	ds_read_b32 v69, v21 offset:13120                          // 000000004CAC: D86C3340 45000015
	ds_read_b32 v72, v21 offset:15232                          // 000000004CB4: D86C3B80 48000015
	ds_read_b32 v73, v21 offset:15296                          // 000000004CBC: D86C3BC0 49000015
	s_waitcnt lgkmcnt(0)                                       // 000000004CC4: BF8CC07F
	s_mov_b32 s36, -1                                          // 000000004CC8: BEA400C1
	s_mov_b32 s37, -1                                          // 000000004CCC: BEA500C1
	v_mov_b32_e32 v7, 0                                        // 000000004CD0: 7E0E0280
	s_mov_b64 exec, s[36:37]                                   // 000000004CD4: BEFE0124
	v_mov_b32_e32 v6, v33                                      // 000000004CD8: 7E0C0321
	s_mov_b64 s[60:61], 0                                      // 000000004CDC: BEBC0180
	v_readlane_b32 s82, v3, 0                                  // 000000004CE0: D2890052 00010103
	s_and_b32 s82, s82, 0xffffff                               // 000000004CE8: 8652FF52 00FFFFFF
	s_cmp_lt_u32 s82, s66                                      // 000000004CF0: BF0A4252
	s_cselect_b32 s20, s36, s60                                // 000000004CF4: 85143C24
	v_readlane_b32 s82, v3, 1                                  // 000000004CF8: D2890052 00010303
	s_and_b32 s82, s82, 0xffffff                               // 000000004D00: 8652FF52 00FFFFFF
	s_cmp_lt_u32 s82, s66                                      // 000000004D08: BF0A4252
	s_cselect_b32 s21, s36, s60                                // 000000004D0C: 85153C24
	s_mov_b64 exec, s[20:21]                                   // 000000004D10: BEFE0114
	global_atomic_add_f32 v6, v44, s[8:9]                      // 000000004D14: DD348000 00082C06
	global_atomic_add_f32 v6, v48, s[8:9] offset:256           // 000000004D1C: DD348100 00083006
	global_atomic_add_f32 v6, v52, s[8:9] offset:512           // 000000004D24: DD348200 00083406
	global_atomic_add_f32 v6, v56, s[8:9] offset:768           // 000000004D2C: DD348300 00083806
	global_atomic_add_f32 v6, v60, s[8:9] offset:1024          // 000000004D34: DD348400 00083C06
	global_atomic_add_f32 v6, v64, s[8:9] offset:1280          // 000000004D3C: DD348500 00084006
	global_atomic_add_f32 v6, v68, s[8:9] offset:1536          // 000000004D44: DD348600 00084406
	global_atomic_add_f32 v6, v72, s[8:9] offset:1792          // 000000004D4C: DD348700 00084806
	s_mov_b64 exec, s[36:37]                                   // 000000004D54: BEFE0124
	v_mov_b32_e32 v6, v34                                      // 000000004D58: 7E0C0322
	s_mov_b64 s[60:61], 0                                      // 000000004D5C: BEBC0180
	v_readlane_b32 s82, v3, 2                                  // 000000004D60: D2890052 00010503
	s_and_b32 s82, s82, 0xffffff                               // 000000004D68: 8652FF52 00FFFFFF
	s_cmp_lt_u32 s82, s66                                      // 000000004D70: BF0A4252
	s_cselect_b32 s20, s36, s60                                // 000000004D74: 85143C24
	v_readlane_b32 s82, v3, 3                                  // 000000004D78: D2890052 00010703
	s_and_b32 s82, s82, 0xffffff                               // 000000004D80: 8652FF52 00FFFFFF
	s_cmp_lt_u32 s82, s66                                      // 000000004D88: BF0A4252
	s_cselect_b32 s21, s36, s60                                // 000000004D8C: 85153C24
	s_mov_b64 exec, s[20:21]                                   // 000000004D90: BEFE0114
	global_atomic_add_f32 v6, v45, s[8:9]                      // 000000004D94: DD348000 00082D06
	global_atomic_add_f32 v6, v49, s[8:9] offset:256           // 000000004D9C: DD348100 00083106
	global_atomic_add_f32 v6, v53, s[8:9] offset:512           // 000000004DA4: DD348200 00083506
	global_atomic_add_f32 v6, v57, s[8:9] offset:768           // 000000004DAC: DD348300 00083906
	global_atomic_add_f32 v6, v61, s[8:9] offset:1024          // 000000004DB4: DD348400 00083D06
	global_atomic_add_f32 v6, v65, s[8:9] offset:1280          // 000000004DBC: DD348500 00084106
	global_atomic_add_f32 v6, v69, s[8:9] offset:1536          // 000000004DC4: DD348600 00084506
	global_atomic_add_f32 v6, v73, s[8:9] offset:1792          // 000000004DCC: DD348700 00084906
	s_mov_b64 exec, s[36:37]                                   // 000000004DD4: BEFE0124
	ds_write_b64 v20, v[46:47]                                 // 000000004DD8: D89A0000 00002E14
	ds_write_b64 v20, v[50:51] offset:2176                     // 000000004DE0: D89A0880 00003214
	ds_write_b64 v20, v[54:55] offset:4352                     // 000000004DE8: D89A1100 00003614
	ds_write_b64 v20, v[58:59] offset:6528                     // 000000004DF0: D89A1980 00003A14
	ds_write_b64 v20, v[62:63] offset:8704                     // 000000004DF8: D89A2200 00003E14
	ds_write_b64 v20, v[66:67] offset:10880                    // 000000004E00: D89A2A80 00004214
	ds_write_b64 v20, v[70:71] offset:13056                    // 000000004E08: D89A3300 00004614
	ds_write_b64 v20, v[74:75] offset:15232                    // 000000004E10: D89A3B80 00004A14
	s_waitcnt lgkmcnt(0)                                       // 000000004E18: BF8CC07F
	s_barrier                                                  // 000000004E1C: BF8A0000
	ds_read_b32 v46, v21                                       // 000000004E20: D86C0000 2E000015
	ds_read_b32 v47, v21 offset:64                             // 000000004E28: D86C0040 2F000015
	ds_read_b32 v50, v21 offset:2176                           // 000000004E30: D86C0880 32000015
	ds_read_b32 v51, v21 offset:2240                           // 000000004E38: D86C08C0 33000015
	ds_read_b32 v54, v21 offset:4352                           // 000000004E40: D86C1100 36000015
	ds_read_b32 v55, v21 offset:4416                           // 000000004E48: D86C1140 37000015
	ds_read_b32 v58, v21 offset:6528                           // 000000004E50: D86C1980 3A000015
	ds_read_b32 v59, v21 offset:6592                           // 000000004E58: D86C19C0 3B000015
	ds_read_b32 v62, v21 offset:8704                           // 000000004E60: D86C2200 3E000015
	ds_read_b32 v63, v21 offset:8768                           // 000000004E68: D86C2240 3F000015
	ds_read_b32 v66, v21 offset:10880                          // 000000004E70: D86C2A80 42000015
	ds_read_b32 v67, v21 offset:10944                          // 000000004E78: D86C2AC0 43000015
	ds_read_b32 v70, v21 offset:13056                          // 000000004E80: D86C3300 46000015
	ds_read_b32 v71, v21 offset:13120                          // 000000004E88: D86C3340 47000015
	ds_read_b32 v74, v21 offset:15232                          // 000000004E90: D86C3B80 4A000015
	ds_read_b32 v75, v21 offset:15296                          // 000000004E98: D86C3BC0 4B000015
	s_waitcnt lgkmcnt(0)                                       // 000000004EA0: BF8CC07F
	v_mov_b32_e32 v7, 0                                        // 000000004EA4: 7E0E0280
	s_mov_b64 exec, s[36:37]                                   // 000000004EA8: BEFE0124
	v_mov_b32_e32 v6, v33                                      // 000000004EAC: 7E0C0321
	s_mov_b64 s[60:61], 0                                      // 000000004EB0: BEBC0180
	v_readlane_b32 s82, v3, 0                                  // 000000004EB4: D2890052 00010103
	s_and_b32 s82, s82, 0xffffff                               // 000000004EBC: 8652FF52 00FFFFFF
	s_cmp_lt_u32 s82, s66                                      // 000000004EC4: BF0A4252
	s_cselect_b32 s20, s36, s60                                // 000000004EC8: 85143C24
	v_readlane_b32 s82, v3, 1                                  // 000000004ECC: D2890052 00010303
	s_and_b32 s82, s82, 0xffffff                               // 000000004ED4: 8652FF52 00FFFFFF
	s_cmp_lt_u32 s82, s66                                      // 000000004EDC: BF0A4252
	s_cselect_b32 s21, s36, s60                                // 000000004EE0: 85153C24
	s_mov_b64 exec, s[20:21]                                   // 000000004EE4: BEFE0114
	global_atomic_add_f32 v6, v46, s[8:9] offset:8             // 000000004EE8: DD348008 00082E06
	global_atomic_add_f32 v6, v50, s[8:9] offset:264           // 000000004EF0: DD348108 00083206
	global_atomic_add_f32 v6, v54, s[8:9] offset:520           // 000000004EF8: DD348208 00083606
	global_atomic_add_f32 v6, v58, s[8:9] offset:776           // 000000004F00: DD348308 00083A06
	global_atomic_add_f32 v6, v62, s[8:9] offset:1032          // 000000004F08: DD348408 00083E06
	global_atomic_add_f32 v6, v66, s[8:9] offset:1288          // 000000004F10: DD348508 00084206
	global_atomic_add_f32 v6, v70, s[8:9] offset:1544          // 000000004F18: DD348608 00084606
	global_atomic_add_f32 v6, v74, s[8:9] offset:1800          // 000000004F20: DD348708 00084A06
	s_mov_b64 exec, s[36:37]                                   // 000000004F28: BEFE0124
	v_mov_b32_e32 v6, v34                                      // 000000004F2C: 7E0C0322
	s_mov_b64 s[60:61], 0                                      // 000000004F30: BEBC0180
	v_readlane_b32 s82, v3, 2                                  // 000000004F34: D2890052 00010503
	s_and_b32 s82, s82, 0xffffff                               // 000000004F3C: 8652FF52 00FFFFFF
	s_cmp_lt_u32 s82, s66                                      // 000000004F44: BF0A4252
	s_cselect_b32 s20, s36, s60                                // 000000004F48: 85143C24
	v_readlane_b32 s82, v3, 3                                  // 000000004F4C: D2890052 00010703
	s_and_b32 s82, s82, 0xffffff                               // 000000004F54: 8652FF52 00FFFFFF
	s_cmp_lt_u32 s82, s66                                      // 000000004F5C: BF0A4252
	s_cselect_b32 s21, s36, s60                                // 000000004F60: 85153C24
	s_mov_b64 exec, s[20:21]                                   // 000000004F64: BEFE0114
	global_atomic_add_f32 v6, v47, s[8:9] offset:8             // 000000004F68: DD348008 00082F06
	global_atomic_add_f32 v6, v51, s[8:9] offset:264           // 000000004F70: DD348108 00083306
	global_atomic_add_f32 v6, v55, s[8:9] offset:520           // 000000004F78: DD348208 00083706
	global_atomic_add_f32 v6, v59, s[8:9] offset:776           // 000000004F80: DD348308 00083B06
	global_atomic_add_f32 v6, v63, s[8:9] offset:1032          // 000000004F88: DD348408 00083F06
	global_atomic_add_f32 v6, v67, s[8:9] offset:1288          // 000000004F90: DD348508 00084306
	global_atomic_add_f32 v6, v71, s[8:9] offset:1544          // 000000004F98: DD348608 00084706
	global_atomic_add_f32 v6, v75, s[8:9] offset:1800          // 000000004FA0: DD348708 00084B06
	s_mov_b64 exec, s[36:37]                                   // 000000004FA8: BEFE0124
	ds_write_b64 v20, v[76:77]                                 // 000000004FAC: D89A0000 00004C14
	ds_write_b64 v20, v[80:81] offset:2176                     // 000000004FB4: D89A0880 00005014
	ds_write_b64 v20, v[84:85] offset:4352                     // 000000004FBC: D89A1100 00005414
	ds_write_b64 v20, v[88:89] offset:6528                     // 000000004FC4: D89A1980 00005814
	ds_write_b64 v20, v[92:93] offset:8704                     // 000000004FCC: D89A2200 00005C14
	ds_write_b64 v20, v[96:97] offset:10880                    // 000000004FD4: D89A2A80 00006014
	ds_write_b64 v20, v[100:101] offset:13056                  // 000000004FDC: D89A3300 00006414
	ds_write_b64 v20, v[104:105] offset:15232                  // 000000004FE4: D89A3B80 00006814
	s_waitcnt lgkmcnt(0)                                       // 000000004FEC: BF8CC07F
	s_barrier                                                  // 000000004FF0: BF8A0000
	ds_read_b32 v76, v21                                       // 000000004FF4: D86C0000 4C000015
	ds_read_b32 v77, v21 offset:64                             // 000000004FFC: D86C0040 4D000015
	ds_read_b32 v80, v21 offset:2176                           // 000000005004: D86C0880 50000015
	ds_read_b32 v81, v21 offset:2240                           // 00000000500C: D86C08C0 51000015
	ds_read_b32 v84, v21 offset:4352                           // 000000005014: D86C1100 54000015
	ds_read_b32 v85, v21 offset:4416                           // 00000000501C: D86C1140 55000015
	ds_read_b32 v88, v21 offset:6528                           // 000000005024: D86C1980 58000015
	ds_read_b32 v89, v21 offset:6592                           // 00000000502C: D86C19C0 59000015
	ds_read_b32 v92, v21 offset:8704                           // 000000005034: D86C2200 5C000015
	ds_read_b32 v93, v21 offset:8768                           // 00000000503C: D86C2240 5D000015
	ds_read_b32 v96, v21 offset:10880                          // 000000005044: D86C2A80 60000015
	ds_read_b32 v97, v21 offset:10944                          // 00000000504C: D86C2AC0 61000015
	ds_read_b32 v100, v21 offset:13056                         // 000000005054: D86C3300 64000015
	ds_read_b32 v101, v21 offset:13120                         // 00000000505C: D86C3340 65000015
	ds_read_b32 v104, v21 offset:15232                         // 000000005064: D86C3B80 68000015
	ds_read_b32 v105, v21 offset:15296                         // 00000000506C: D86C3BC0 69000015
	s_mul_i32 s60, s65, 4                                      // 000000005074: 923C8441
	s_add_u32 s8, s60, s8                                      // 000000005078: 8008083C
	s_addc_u32 s9, 0, s9                                       // 00000000507C: 82090980
	s_waitcnt lgkmcnt(0)                                       // 000000005080: BF8CC07F
	v_mov_b32_e32 v7, 0                                        // 000000005084: 7E0E0280
	s_mov_b64 exec, s[36:37]                                   // 000000005088: BEFE0124
	v_mov_b32_e32 v6, v33                                      // 00000000508C: 7E0C0321
	s_mov_b64 s[60:61], 0                                      // 000000005090: BEBC0180
	v_readlane_b32 s82, v3, 0                                  // 000000005094: D2890052 00010103
	s_and_b32 s82, s82, 0xffffff                               // 00000000509C: 8652FF52 00FFFFFF
	s_cmp_lt_u32 s82, s66                                      // 0000000050A4: BF0A4252
	s_cselect_b32 s20, s36, s60                                // 0000000050A8: 85143C24
	v_readlane_b32 s82, v3, 1                                  // 0000000050AC: D2890052 00010303
	s_and_b32 s82, s82, 0xffffff                               // 0000000050B4: 8652FF52 00FFFFFF
	s_cmp_lt_u32 s82, s66                                      // 0000000050BC: BF0A4252
	s_cselect_b32 s21, s36, s60                                // 0000000050C0: 85153C24
	s_mov_b64 exec, s[20:21]                                   // 0000000050C4: BEFE0114
	global_atomic_add_f32 v6, v76, s[8:9]                      // 0000000050C8: DD348000 00084C06
	global_atomic_add_f32 v6, v80, s[8:9] offset:256           // 0000000050D0: DD348100 00085006
	global_atomic_add_f32 v6, v84, s[8:9] offset:512           // 0000000050D8: DD348200 00085406
	global_atomic_add_f32 v6, v88, s[8:9] offset:768           // 0000000050E0: DD348300 00085806
	global_atomic_add_f32 v6, v92, s[8:9] offset:1024          // 0000000050E8: DD348400 00085C06
	global_atomic_add_f32 v6, v96, s[8:9] offset:1280          // 0000000050F0: DD348500 00086006
	global_atomic_add_f32 v6, v100, s[8:9] offset:1536         // 0000000050F8: DD348600 00086406
	global_atomic_add_f32 v6, v104, s[8:9] offset:1792         // 000000005100: DD348700 00086806
	s_mov_b64 exec, s[36:37]                                   // 000000005108: BEFE0124
	v_mov_b32_e32 v6, v34                                      // 00000000510C: 7E0C0322
	s_mov_b64 s[60:61], 0                                      // 000000005110: BEBC0180
	v_readlane_b32 s82, v3, 2                                  // 000000005114: D2890052 00010503
	s_and_b32 s82, s82, 0xffffff                               // 00000000511C: 8652FF52 00FFFFFF
	s_cmp_lt_u32 s82, s66                                      // 000000005124: BF0A4252
	s_cselect_b32 s20, s36, s60                                // 000000005128: 85143C24
	v_readlane_b32 s82, v3, 3                                  // 00000000512C: D2890052 00010703
	s_and_b32 s82, s82, 0xffffff                               // 000000005134: 8652FF52 00FFFFFF
	s_cmp_lt_u32 s82, s66                                      // 00000000513C: BF0A4252
	s_cselect_b32 s21, s36, s60                                // 000000005140: 85153C24
	s_mov_b64 exec, s[20:21]                                   // 000000005144: BEFE0114
	global_atomic_add_f32 v6, v77, s[8:9]                      // 000000005148: DD348000 00084D06
	global_atomic_add_f32 v6, v81, s[8:9] offset:256           // 000000005150: DD348100 00085106
	global_atomic_add_f32 v6, v85, s[8:9] offset:512           // 000000005158: DD348200 00085506
	global_atomic_add_f32 v6, v89, s[8:9] offset:768           // 000000005160: DD348300 00085906
	global_atomic_add_f32 v6, v93, s[8:9] offset:1024          // 000000005168: DD348400 00085D06
	global_atomic_add_f32 v6, v97, s[8:9] offset:1280          // 000000005170: DD348500 00086106
	global_atomic_add_f32 v6, v101, s[8:9] offset:1536         // 000000005178: DD348600 00086506
	global_atomic_add_f32 v6, v105, s[8:9] offset:1792         // 000000005180: DD348700 00086906
	s_mov_b64 exec, s[36:37]                                   // 000000005188: BEFE0124
	ds_write_b64 v20, v[78:79]                                 // 00000000518C: D89A0000 00004E14
	ds_write_b64 v20, v[82:83] offset:2176                     // 000000005194: D89A0880 00005214
	ds_write_b64 v20, v[86:87] offset:4352                     // 00000000519C: D89A1100 00005614
	ds_write_b64 v20, v[90:91] offset:6528                     // 0000000051A4: D89A1980 00005A14
	ds_write_b64 v20, v[94:95] offset:8704                     // 0000000051AC: D89A2200 00005E14
	ds_write_b64 v20, v[98:99] offset:10880                    // 0000000051B4: D89A2A80 00006214
	ds_write_b64 v20, v[102:103] offset:13056                  // 0000000051BC: D89A3300 00006614
	ds_write_b64 v20, v[106:107] offset:15232                  // 0000000051C4: D89A3B80 00006A14
	s_waitcnt lgkmcnt(0)                                       // 0000000051CC: BF8CC07F
	s_barrier                                                  // 0000000051D0: BF8A0000
	ds_read_b32 v78, v21                                       // 0000000051D4: D86C0000 4E000015
	ds_read_b32 v79, v21 offset:64                             // 0000000051DC: D86C0040 4F000015
	ds_read_b32 v82, v21 offset:2176                           // 0000000051E4: D86C0880 52000015
	ds_read_b32 v83, v21 offset:2240                           // 0000000051EC: D86C08C0 53000015
	ds_read_b32 v86, v21 offset:4352                           // 0000000051F4: D86C1100 56000015
	ds_read_b32 v87, v21 offset:4416                           // 0000000051FC: D86C1140 57000015
	ds_read_b32 v90, v21 offset:6528                           // 000000005204: D86C1980 5A000015
	ds_read_b32 v91, v21 offset:6592                           // 00000000520C: D86C19C0 5B000015
	ds_read_b32 v94, v21 offset:8704                           // 000000005214: D86C2200 5E000015
	ds_read_b32 v95, v21 offset:8768                           // 00000000521C: D86C2240 5F000015
	ds_read_b32 v98, v21 offset:10880                          // 000000005224: D86C2A80 62000015
	ds_read_b32 v99, v21 offset:10944                          // 00000000522C: D86C2AC0 63000015
	ds_read_b32 v102, v21 offset:13056                         // 000000005234: D86C3300 66000015
	ds_read_b32 v103, v21 offset:13120                         // 00000000523C: D86C3340 67000015
	ds_read_b32 v106, v21 offset:15232                         // 000000005244: D86C3B80 6A000015
	ds_read_b32 v107, v21 offset:15296                         // 00000000524C: D86C3BC0 6B000015
	s_waitcnt lgkmcnt(0)                                       // 000000005254: BF8CC07F
	v_mov_b32_e32 v7, 0                                        // 000000005258: 7E0E0280
	s_mov_b64 exec, s[36:37]                                   // 00000000525C: BEFE0124
	v_mov_b32_e32 v6, v33                                      // 000000005260: 7E0C0321
	s_mov_b64 s[60:61], 0                                      // 000000005264: BEBC0180
	v_readlane_b32 s82, v3, 0                                  // 000000005268: D2890052 00010103
	s_and_b32 s82, s82, 0xffffff                               // 000000005270: 8652FF52 00FFFFFF
	s_cmp_lt_u32 s82, s66                                      // 000000005278: BF0A4252
	s_cselect_b32 s20, s36, s60                                // 00000000527C: 85143C24
	v_readlane_b32 s82, v3, 1                                  // 000000005280: D2890052 00010303
	s_and_b32 s82, s82, 0xffffff                               // 000000005288: 8652FF52 00FFFFFF
	s_cmp_lt_u32 s82, s66                                      // 000000005290: BF0A4252
	s_cselect_b32 s21, s36, s60                                // 000000005294: 85153C24
	s_mov_b64 exec, s[20:21]                                   // 000000005298: BEFE0114
	global_atomic_add_f32 v6, v78, s[8:9] offset:8             // 00000000529C: DD348008 00084E06
	global_atomic_add_f32 v6, v82, s[8:9] offset:264           // 0000000052A4: DD348108 00085206
	global_atomic_add_f32 v6, v86, s[8:9] offset:520           // 0000000052AC: DD348208 00085606
	global_atomic_add_f32 v6, v90, s[8:9] offset:776           // 0000000052B4: DD348308 00085A06
	global_atomic_add_f32 v6, v94, s[8:9] offset:1032          // 0000000052BC: DD348408 00085E06
	global_atomic_add_f32 v6, v98, s[8:9] offset:1288          // 0000000052C4: DD348508 00086206
	global_atomic_add_f32 v6, v102, s[8:9] offset:1544         // 0000000052CC: DD348608 00086606
	global_atomic_add_f32 v6, v106, s[8:9] offset:1800         // 0000000052D4: DD348708 00086A06
	s_mov_b64 exec, s[36:37]                                   // 0000000052DC: BEFE0124
	v_mov_b32_e32 v6, v34                                      // 0000000052E0: 7E0C0322
	s_mov_b64 s[60:61], 0                                      // 0000000052E4: BEBC0180
	v_readlane_b32 s82, v3, 2                                  // 0000000052E8: D2890052 00010503
	s_and_b32 s82, s82, 0xffffff                               // 0000000052F0: 8652FF52 00FFFFFF
	s_cmp_lt_u32 s82, s66                                      // 0000000052F8: BF0A4252
	s_cselect_b32 s20, s36, s60                                // 0000000052FC: 85143C24
	v_readlane_b32 s82, v3, 3                                  // 000000005300: D2890052 00010703
	s_and_b32 s82, s82, 0xffffff                               // 000000005308: 8652FF52 00FFFFFF
	s_cmp_lt_u32 s82, s66                                      // 000000005310: BF0A4252
	s_cselect_b32 s21, s36, s60                                // 000000005314: 85153C24
	s_mov_b64 exec, s[20:21]                                   // 000000005318: BEFE0114
	global_atomic_add_f32 v6, v79, s[8:9] offset:8             // 00000000531C: DD348008 00084F06
	global_atomic_add_f32 v6, v83, s[8:9] offset:264           // 000000005324: DD348108 00085306
	global_atomic_add_f32 v6, v87, s[8:9] offset:520           // 00000000532C: DD348208 00085706
	global_atomic_add_f32 v6, v91, s[8:9] offset:776           // 000000005334: DD348308 00085B06
	global_atomic_add_f32 v6, v95, s[8:9] offset:1032          // 00000000533C: DD348408 00085F06
	global_atomic_add_f32 v6, v99, s[8:9] offset:1288          // 000000005344: DD348508 00086306
	global_atomic_add_f32 v6, v103, s[8:9] offset:1544         // 00000000534C: DD348608 00086706
	global_atomic_add_f32 v6, v107, s[8:9] offset:1800         // 000000005354: DD348708 00086B06
	s_mov_b64 exec, s[36:37]                                   // 00000000535C: BEFE0124
	s_branch label_12E8                                        // 000000005360: BF82088C

0000000000005364 <label_0A5C>:
	s_waitcnt vmcnt(14) lgkmcnt(0)                             // 000000005364: BF8C007E
	s_barrier                                                  // 000000005368: BF8A0000
	v_mfma_f32_16x16x32_fp8_fp8 v[44:47], a[16:17], a[0:1], v[44:47]// 00000000536C: D3F3002C 1CB20110
	buffer_load_dwordx4 a[80:83], v35, s[84:87], 0 offen       // 000000005374: E05C1000 80955023
	v_mfma_f32_16x16x32_fp8_fp8 v[44:47], a[18:19], a[2:3], v[44:47]// 00000000537C: D3F3002C 1CB20512
	v_mfma_f32_16x16x32_fp8_fp8 v[44:47], a[20:21], a[4:5], v[44:47]// 000000005384: D3F3002C 1CB20914
	v_mfma_f32_16x16x32_fp8_fp8 v[44:47], a[22:23], a[6:7], v[44:47]// 00000000538C: D3F3002C 1CB20D16
	s_waitcnt vmcnt(13)                                        // 000000005394: BF8C0F7D
	v_mfma_f32_16x16x32_fp8_fp8 v[48:51], a[24:25], a[0:1], v[48:51]// 000000005398: D3F30030 1CC20118
	buffer_load_dwordx4 a[84:87], v35, s[84:87], 0 offen offset:1024// 0000000053A0: E05C1400 80955423
	v_mfma_f32_16x16x32_fp8_fp8 v[48:51], a[26:27], a[2:3], v[48:51]// 0000000053A8: D3F30030 1CC2051A
	v_mfma_f32_16x16x32_fp8_fp8 v[48:51], a[28:29], a[4:5], v[48:51]// 0000000053B0: D3F30030 1CC2091C
	v_mfma_f32_16x16x32_fp8_fp8 v[48:51], a[30:31], a[6:7], v[48:51]// 0000000053B8: D3F30030 1CC20D1E
	s_waitcnt vmcnt(12)                                        // 0000000053C0: BF8C0F7C
	v_mfma_f32_16x16x32_fp8_fp8 v[52:55], a[32:33], a[0:1], v[52:55]// 0000000053C4: D3F30034 1CD20120
	buffer_load_dwordx4 a[88:91], v36, s[84:87], 0 offen       // 0000000053CC: E05C1000 80955824
	v_mfma_f32_16x16x32_fp8_fp8 v[52:55], a[34:35], a[2:3], v[52:55]// 0000000053D4: D3F30034 1CD20522
	v_mfma_f32_16x16x32_fp8_fp8 v[52:55], a[36:37], a[4:5], v[52:55]// 0000000053DC: D3F30034 1CD20924
	v_mfma_f32_16x16x32_fp8_fp8 v[52:55], a[38:39], a[6:7], v[52:55]// 0000000053E4: D3F30034 1CD20D26
	s_waitcnt vmcnt(11)                                        // 0000000053EC: BF8C0F7B
	v_mfma_f32_16x16x32_fp8_fp8 v[56:59], a[40:41], a[0:1], v[56:59]// 0000000053F0: D3F30038 1CE20128
	buffer_load_dwordx4 a[92:95], v36, s[84:87], 0 offen offset:1024// 0000000053F8: E05C1400 80955C24
	v_mfma_f32_16x16x32_fp8_fp8 v[56:59], a[42:43], a[2:3], v[56:59]// 000000005400: D3F30038 1CE2052A
	v_mfma_f32_16x16x32_fp8_fp8 v[56:59], a[44:45], a[4:5], v[56:59]// 000000005408: D3F30038 1CE2092C
	v_mfma_f32_16x16x32_fp8_fp8 v[56:59], a[46:47], a[6:7], v[56:59]// 000000005410: D3F30038 1CE20D2E
	s_waitcnt vmcnt(10)                                        // 000000005418: BF8C0F7A
	v_mfma_f32_16x16x32_fp8_fp8 v[60:63], a[48:49], a[0:1], v[60:63]// 00000000541C: D3F3003C 1CF20130
	buffer_load_dwordx4 a[96:99], v37, s[84:87], 0 offen       // 000000005424: E05C1000 80956025
	v_mfma_f32_16x16x32_fp8_fp8 v[60:63], a[50:51], a[2:3], v[60:63]// 00000000542C: D3F3003C 1CF20532
	v_mfma_f32_16x16x32_fp8_fp8 v[60:63], a[52:53], a[4:5], v[60:63]// 000000005434: D3F3003C 1CF20934
	v_mfma_f32_16x16x32_fp8_fp8 v[60:63], a[54:55], a[6:7], v[60:63]// 00000000543C: D3F3003C 1CF20D36
	s_waitcnt vmcnt(9)                                         // 000000005444: BF8C0F79
	v_mfma_f32_16x16x32_fp8_fp8 v[64:67], a[56:57], a[0:1], v[64:67]// 000000005448: D3F30040 1D020138
	buffer_load_dwordx4 a[100:103], v37, s[84:87], 0 offen offset:1024// 000000005450: E05C1400 80956425
	v_mfma_f32_16x16x32_fp8_fp8 v[64:67], a[58:59], a[2:3], v[64:67]// 000000005458: D3F30040 1D02053A
	v_mfma_f32_16x16x32_fp8_fp8 v[64:67], a[60:61], a[4:5], v[64:67]// 000000005460: D3F30040 1D02093C
	v_mfma_f32_16x16x32_fp8_fp8 v[64:67], a[62:63], a[6:7], v[64:67]// 000000005468: D3F30040 1D020D3E
	s_waitcnt vmcnt(8)                                         // 000000005470: BF8C0F78
	v_mfma_f32_16x16x32_fp8_fp8 v[68:71], a[64:65], a[0:1], v[68:71]// 000000005474: D3F30044 1D120140
	buffer_load_dwordx4 a[104:107], v38, s[84:87], 0 offen     // 00000000547C: E05C1000 80956826
	v_mfma_f32_16x16x32_fp8_fp8 v[68:71], a[66:67], a[2:3], v[68:71]// 000000005484: D3F30044 1D120542
	v_mfma_f32_16x16x32_fp8_fp8 v[68:71], a[68:69], a[4:5], v[68:71]// 00000000548C: D3F30044 1D120944
	v_mfma_f32_16x16x32_fp8_fp8 v[68:71], a[70:71], a[6:7], v[68:71]// 000000005494: D3F30044 1D120D46
	s_waitcnt vmcnt(7)                                         // 00000000549C: BF8C0F77
	v_mfma_f32_16x16x32_fp8_fp8 v[72:75], a[72:73], a[0:1], v[72:75]// 0000000054A0: D3F30048 1D220148
	buffer_load_dwordx4 a[108:111], v38, s[84:87], 0 offen offset:1024// 0000000054A8: E05C1400 80956C26
	v_mfma_f32_16x16x32_fp8_fp8 v[72:75], a[74:75], a[2:3], v[72:75]// 0000000054B0: D3F30048 1D22054A
	s_add_u32 s60, 0x80, s80                                   // 0000000054B8: 803C50FF 00000080
	s_cmp_lt_u32 s60, s81                                      // 0000000054C0: BF0A513C
	s_cselect_b32 s83, s83, 0                                  // 0000000054C4: 85538053
	v_mfma_f32_16x16x32_fp8_fp8 v[72:75], a[76:77], a[4:5], v[72:75]// 0000000054C8: D3F30048 1D22094C
	v_mfma_f32_16x16x32_fp8_fp8 v[72:75], a[78:79], a[6:7], v[72:75]// 0000000054D0: D3F30048 1D220D4E
	buffer_load_dwordx4 a[112:115], v39, s[84:87], 0 offen     // 0000000054D8: E05C1000 80957027
	buffer_load_dwordx4 a[116:119], v39, s[84:87], 0 offen offset:1024// 0000000054E0: E05C1400 80957427
	buffer_load_dwordx4 a[120:123], v40, s[84:87], 0 offen     // 0000000054E8: E05C1000 80957828
	buffer_load_dwordx4 a[124:127], v40, s[84:87], 0 offen offset:1024// 0000000054F0: E05C1400 80957C28
	buffer_load_dwordx4 a[128:131], v41, s[84:87], 0 offen     // 0000000054F8: E05C1000 80958029
	buffer_load_dwordx4 a[132:135], v41, s[84:87], 0 offen offset:1024// 000000005500: E05C1400 80958429
	buffer_load_dwordx4 a[136:139], v42, s[84:87], 0 offen     // 000000005508: E05C1000 8095882A
	buffer_load_dwordx4 a[140:143], v42, s[84:87], 0 offen offset:1024// 000000005510: E05C1400 80958C2A
	buffer_load_dword v33, s[20:23], 0 offen lds               // 000000005518: E0511000 80050021
	s_add_u32 m0, 0x100, s48                                   // 000000005520: 807C30FF 00000100
	buffer_load_dword v34, s[20:23], 0 offen lds               // 000000005528: E0511000 80050022
	s_add_u32 m0, 0, s49                                       // 000000005530: 807C3180
	s_waitcnt vmcnt(2)                                         // 000000005534: BF8C0F72
	v_mfma_f32_16x16x32_fp8_fp8 v[76:79], a[80:81], a[0:1], v[76:79]// 000000005538: D3F3004C 1D320150
	buffer_load_dwordx4 a[16:19], v35, s[24:27], 0 offen       // 000000005540: E05C1000 80861023
	v_mfma_f32_16x16x32_fp8_fp8 v[76:79], a[82:83], a[2:3], v[76:79]// 000000005548: D3F3004C 1D320552
	v_mfma_f32_16x16x32_fp8_fp8 v[76:79], a[84:85], a[4:5], v[76:79]// 000000005550: D3F3004C 1D320954
	ds_read_b128 a[8:11], v2 offset:2176                       // 000000005558: DBFE0880 08000002
	ds_read_b128 a[12:15], v2 offset:2240                      // 000000005560: DBFE08C0 0C000002
	v_mfma_f32_16x16x32_fp8_fp8 v[76:79], a[86:87], a[6:7], v[76:79]// 000000005568: D3F3004C 1D320D56
	v_mfma_f32_16x16x32_fp8_fp8 v[80:83], a[88:89], a[0:1], v[80:83]// 000000005570: D3F30050 1D420158
	buffer_load_dwordx4 a[20:23], v35, s[24:27], 0 offen offset:1024// 000000005578: E05C1400 80861423
	v_mfma_f32_16x16x32_fp8_fp8 v[80:83], a[90:91], a[2:3], v[80:83]// 000000005580: D3F30050 1D42055A
	v_mfma_f32_16x16x32_fp8_fp8 v[80:83], a[92:93], a[4:5], v[80:83]// 000000005588: D3F30050 1D42095C
	v_mfma_f32_16x16x32_fp8_fp8 v[80:83], a[94:95], a[6:7], v[80:83]// 000000005590: D3F30050 1D420D5E
	v_mfma_f32_16x16x32_fp8_fp8 v[84:87], a[96:97], a[0:1], v[84:87]// 000000005598: D3F30054 1D520160
	buffer_load_dwordx4 a[24:27], v36, s[24:27], 0 offen       // 0000000055A0: E05C1000 80861824
	v_mfma_f32_16x16x32_fp8_fp8 v[84:87], a[98:99], a[2:3], v[84:87]// 0000000055A8: D3F30054 1D520562
	v_mfma_f32_16x16x32_fp8_fp8 v[84:87], a[100:101], a[4:5], v[84:87]// 0000000055B0: D3F30054 1D520964
	v_mfma_f32_16x16x32_fp8_fp8 v[84:87], a[102:103], a[6:7], v[84:87]// 0000000055B8: D3F30054 1D520D66
	v_mfma_f32_16x16x32_fp8_fp8 v[88:91], a[104:105], a[0:1], v[88:91]// 0000000055C0: D3F30058 1D620168
	buffer_load_dwordx4 a[28:31], v36, s[24:27], 0 offen offset:1024// 0000000055C8: E05C1400 80861C24
	v_mfma_f32_16x16x32_fp8_fp8 v[88:91], a[106:107], a[2:3], v[88:91]// 0000000055D0: D3F30058 1D62056A
	v_mfma_f32_16x16x32_fp8_fp8 v[88:91], a[108:109], a[4:5], v[88:91]// 0000000055D8: D3F30058 1D62096C
	v_mfma_f32_16x16x32_fp8_fp8 v[88:91], a[110:111], a[6:7], v[88:91]// 0000000055E0: D3F30058 1D620D6E
	v_mfma_f32_16x16x32_fp8_fp8 v[92:95], a[112:113], a[0:1], v[92:95]// 0000000055E8: D3F3005C 1D720170
	buffer_load_dwordx4 a[32:35], v37, s[24:27], 0 offen       // 0000000055F0: E05C1000 80862025
	v_mfma_f32_16x16x32_fp8_fp8 v[92:95], a[114:115], a[2:3], v[92:95]// 0000000055F8: D3F3005C 1D720572
	v_mfma_f32_16x16x32_fp8_fp8 v[92:95], a[116:117], a[4:5], v[92:95]// 000000005600: D3F3005C 1D720974
	v_mfma_f32_16x16x32_fp8_fp8 v[92:95], a[118:119], a[6:7], v[92:95]// 000000005608: D3F3005C 1D720D76
	v_mfma_f32_16x16x32_fp8_fp8 v[96:99], a[120:121], a[0:1], v[96:99]// 000000005610: D3F30060 1D820178
	buffer_load_dwordx4 a[36:39], v37, s[24:27], 0 offen offset:1024// 000000005618: E05C1400 80862425
	v_mfma_f32_16x16x32_fp8_fp8 v[96:99], a[122:123], a[2:3], v[96:99]// 000000005620: D3F30060 1D82057A
	v_mfma_f32_16x16x32_fp8_fp8 v[96:99], a[124:125], a[4:5], v[96:99]// 000000005628: D3F30060 1D82097C
	v_mfma_f32_16x16x32_fp8_fp8 v[96:99], a[126:127], a[6:7], v[96:99]// 000000005630: D3F30060 1D820D7E
	v_mfma_f32_16x16x32_fp8_fp8 v[100:103], a[128:129], a[0:1], v[100:103]// 000000005638: D3F30064 1D920180
	buffer_load_dwordx4 a[40:43], v38, s[24:27], 0 offen       // 000000005640: E05C1000 80862826
	v_mfma_f32_16x16x32_fp8_fp8 v[100:103], a[130:131], a[2:3], v[100:103]// 000000005648: D3F30064 1D920582
	v_mfma_f32_16x16x32_fp8_fp8 v[100:103], a[132:133], a[4:5], v[100:103]// 000000005650: D3F30064 1D920984
	s_add_u32 s60, 0x180, s80                                  // 000000005658: 803C50FF 00000180
	s_cmp_lt_u32 s60, s81                                      // 000000005660: BF0A513C
	s_cselect_b32 s57, s57, 0                                  // 000000005664: 85398039
	v_mfma_f32_16x16x32_fp8_fp8 v[100:103], a[134:135], a[6:7], v[100:103]// 000000005668: D3F30064 1D920D86
	s_add_u32 s60, 0x100, s80                                  // 000000005670: 803C50FF 00000100
	s_cmp_lt_u32 s60, s81                                      // 000000005678: BF0A513C
	s_cselect_b32 s58, s58, 0                                  // 00000000567C: 853A803A
	v_mfma_f32_16x16x32_fp8_fp8 v[104:107], a[136:137], a[0:1], v[104:107]// 000000005680: D3F30068 1DA20188
	buffer_load_dwordx4 a[44:47], v38, s[24:27], 0 offen offset:1024// 000000005688: E05C1400 80862C26
	v_mfma_f32_16x16x32_fp8_fp8 v[104:107], a[138:139], a[2:3], v[104:107]// 000000005690: D3F30068 1DA2058A
	s_add_u32 s20, s57, s20                                    // 000000005698: 80141439
	s_addc_u32 s21, 0, s21                                     // 00000000569C: 82151580
	v_mfma_f32_16x16x32_fp8_fp8 v[104:107], a[140:141], a[4:5], v[104:107]// 0000000056A0: D3F30068 1DA2098C
	s_add_u32 s84, s83, s84                                    // 0000000056A8: 80545453
	s_addc_u32 s85, 0, s85                                     // 0000000056AC: 82555580
	v_mfma_f32_16x16x32_fp8_fp8 v[104:107], a[142:143], a[6:7], v[104:107]// 0000000056B0: D3F30068 1DA20D8E
	buffer_load_dwordx4 a[48:51], v39, s[24:27], 0 offen       // 0000000056B8: E05C1000 80863027
	buffer_load_dwordx4 a[52:55], v39, s[24:27], 0 offen offset:1024// 0000000056C0: E05C1400 80863427
	buffer_load_dwordx4 a[56:59], v40, s[24:27], 0 offen       // 0000000056C8: E05C1000 80863828
	buffer_load_dwordx4 a[60:63], v40, s[24:27], 0 offen offset:1024// 0000000056D0: E05C1400 80863C28
	buffer_load_dwordx4 a[64:67], v41, s[24:27], 0 offen       // 0000000056D8: E05C1000 80864029
	buffer_load_dwordx4 a[68:71], v41, s[24:27], 0 offen offset:1024// 0000000056E0: E05C1400 80864429
	buffer_load_dwordx4 a[72:75], v42, s[24:27], 0 offen       // 0000000056E8: E05C1000 8086482A
	buffer_load_dwordx4 a[76:79], v42, s[24:27], 0 offen offset:1024// 0000000056F0: E05C1400 80864C2A
	s_add_u32 s24, s58, s24                                    // 0000000056F8: 8018183A
	s_addc_u32 s25, 0, s25                                     // 0000000056FC: 82191980
	s_addk_i32 s80, 0x80                                       // 000000005700: B7500080
	s_cmp_lt_i32 s80, s81                                      // 000000005704: BF045150
	s_cbranch_scc0 label_0C31                                  // 000000005708: BF8400EB
	s_waitcnt vmcnt(14) lgkmcnt(0)                             // 00000000570C: BF8C007E
	s_barrier                                                  // 000000005710: BF8A0000
	v_mfma_f32_16x16x32_fp8_fp8 v[44:47], a[16:17], a[8:9], v[44:47]// 000000005714: D3F3002C 1CB21110
	buffer_load_dwordx4 a[80:83], v35, s[84:87], 0 offen       // 00000000571C: E05C1000 80955023
	v_mfma_f32_16x16x32_fp8_fp8 v[44:47], a[18:19], a[10:11], v[44:47]// 000000005724: D3F3002C 1CB21512
	v_mfma_f32_16x16x32_fp8_fp8 v[44:47], a[20:21], a[12:13], v[44:47]// 00000000572C: D3F3002C 1CB21914
	v_mfma_f32_16x16x32_fp8_fp8 v[44:47], a[22:23], a[14:15], v[44:47]// 000000005734: D3F3002C 1CB21D16
	s_waitcnt vmcnt(13)                                        // 00000000573C: BF8C0F7D
	v_mfma_f32_16x16x32_fp8_fp8 v[48:51], a[24:25], a[8:9], v[48:51]// 000000005740: D3F30030 1CC21118
	buffer_load_dwordx4 a[84:87], v35, s[84:87], 0 offen offset:1024// 000000005748: E05C1400 80955423
	v_mfma_f32_16x16x32_fp8_fp8 v[48:51], a[26:27], a[10:11], v[48:51]// 000000005750: D3F30030 1CC2151A
	v_mfma_f32_16x16x32_fp8_fp8 v[48:51], a[28:29], a[12:13], v[48:51]// 000000005758: D3F30030 1CC2191C
	v_mfma_f32_16x16x32_fp8_fp8 v[48:51], a[30:31], a[14:15], v[48:51]// 000000005760: D3F30030 1CC21D1E
	s_waitcnt vmcnt(12)                                        // 000000005768: BF8C0F7C
	v_mfma_f32_16x16x32_fp8_fp8 v[52:55], a[32:33], a[8:9], v[52:55]// 00000000576C: D3F30034 1CD21120
	buffer_load_dwordx4 a[88:91], v36, s[84:87], 0 offen       // 000000005774: E05C1000 80955824
	v_mfma_f32_16x16x32_fp8_fp8 v[52:55], a[34:35], a[10:11], v[52:55]// 00000000577C: D3F30034 1CD21522
	v_mfma_f32_16x16x32_fp8_fp8 v[52:55], a[36:37], a[12:13], v[52:55]// 000000005784: D3F30034 1CD21924
	v_mfma_f32_16x16x32_fp8_fp8 v[52:55], a[38:39], a[14:15], v[52:55]// 00000000578C: D3F30034 1CD21D26
	s_waitcnt vmcnt(11)                                        // 000000005794: BF8C0F7B
	v_mfma_f32_16x16x32_fp8_fp8 v[56:59], a[40:41], a[8:9], v[56:59]// 000000005798: D3F30038 1CE21128
	buffer_load_dwordx4 a[92:95], v36, s[84:87], 0 offen offset:1024// 0000000057A0: E05C1400 80955C24
	v_mfma_f32_16x16x32_fp8_fp8 v[56:59], a[42:43], a[10:11], v[56:59]// 0000000057A8: D3F30038 1CE2152A
	v_mfma_f32_16x16x32_fp8_fp8 v[56:59], a[44:45], a[12:13], v[56:59]// 0000000057B0: D3F30038 1CE2192C
	v_mfma_f32_16x16x32_fp8_fp8 v[56:59], a[46:47], a[14:15], v[56:59]// 0000000057B8: D3F30038 1CE21D2E
	s_waitcnt vmcnt(10)                                        // 0000000057C0: BF8C0F7A
	v_mfma_f32_16x16x32_fp8_fp8 v[60:63], a[48:49], a[8:9], v[60:63]// 0000000057C4: D3F3003C 1CF21130
	buffer_load_dwordx4 a[96:99], v37, s[84:87], 0 offen       // 0000000057CC: E05C1000 80956025
	v_mfma_f32_16x16x32_fp8_fp8 v[60:63], a[50:51], a[10:11], v[60:63]// 0000000057D4: D3F3003C 1CF21532
	v_mfma_f32_16x16x32_fp8_fp8 v[60:63], a[52:53], a[12:13], v[60:63]// 0000000057DC: D3F3003C 1CF21934
	v_mfma_f32_16x16x32_fp8_fp8 v[60:63], a[54:55], a[14:15], v[60:63]// 0000000057E4: D3F3003C 1CF21D36
	s_waitcnt vmcnt(9)                                         // 0000000057EC: BF8C0F79
	v_mfma_f32_16x16x32_fp8_fp8 v[64:67], a[56:57], a[8:9], v[64:67]// 0000000057F0: D3F30040 1D021138
	buffer_load_dwordx4 a[100:103], v37, s[84:87], 0 offen offset:1024// 0000000057F8: E05C1400 80956425
	v_mfma_f32_16x16x32_fp8_fp8 v[64:67], a[58:59], a[10:11], v[64:67]// 000000005800: D3F30040 1D02153A
	v_mfma_f32_16x16x32_fp8_fp8 v[64:67], a[60:61], a[12:13], v[64:67]// 000000005808: D3F30040 1D02193C
	v_mfma_f32_16x16x32_fp8_fp8 v[64:67], a[62:63], a[14:15], v[64:67]// 000000005810: D3F30040 1D021D3E
	s_waitcnt vmcnt(8)                                         // 000000005818: BF8C0F78
	v_mfma_f32_16x16x32_fp8_fp8 v[68:71], a[64:65], a[8:9], v[68:71]// 00000000581C: D3F30044 1D121140
	buffer_load_dwordx4 a[104:107], v38, s[84:87], 0 offen     // 000000005824: E05C1000 80956826
	v_mfma_f32_16x16x32_fp8_fp8 v[68:71], a[66:67], a[10:11], v[68:71]// 00000000582C: D3F30044 1D121542
	v_mfma_f32_16x16x32_fp8_fp8 v[68:71], a[68:69], a[12:13], v[68:71]// 000000005834: D3F30044 1D121944
	v_mfma_f32_16x16x32_fp8_fp8 v[68:71], a[70:71], a[14:15], v[68:71]// 00000000583C: D3F30044 1D121D46
	s_waitcnt vmcnt(7)                                         // 000000005844: BF8C0F77
	v_mfma_f32_16x16x32_fp8_fp8 v[72:75], a[72:73], a[8:9], v[72:75]// 000000005848: D3F30048 1D221148
	buffer_load_dwordx4 a[108:111], v38, s[84:87], 0 offen offset:1024// 000000005850: E05C1400 80956C26
	v_mfma_f32_16x16x32_fp8_fp8 v[72:75], a[74:75], a[10:11], v[72:75]// 000000005858: D3F30048 1D22154A
	s_add_u32 s60, 0x80, s80                                   // 000000005860: 803C50FF 00000080
	s_cmp_lt_u32 s60, s81                                      // 000000005868: BF0A513C
	s_cselect_b32 s83, s83, 0                                  // 00000000586C: 85538053
	v_mfma_f32_16x16x32_fp8_fp8 v[72:75], a[76:77], a[12:13], v[72:75]// 000000005870: D3F30048 1D22194C
	v_mfma_f32_16x16x32_fp8_fp8 v[72:75], a[78:79], a[14:15], v[72:75]// 000000005878: D3F30048 1D221D4E
	buffer_load_dwordx4 a[112:115], v39, s[84:87], 0 offen     // 000000005880: E05C1000 80957027
	buffer_load_dwordx4 a[116:119], v39, s[84:87], 0 offen offset:1024// 000000005888: E05C1400 80957427
	buffer_load_dwordx4 a[120:123], v40, s[84:87], 0 offen     // 000000005890: E05C1000 80957828
	buffer_load_dwordx4 a[124:127], v40, s[84:87], 0 offen offset:1024// 000000005898: E05C1400 80957C28
	buffer_load_dwordx4 a[128:131], v41, s[84:87], 0 offen     // 0000000058A0: E05C1000 80958029
	buffer_load_dwordx4 a[132:135], v41, s[84:87], 0 offen offset:1024// 0000000058A8: E05C1400 80958429
	buffer_load_dwordx4 a[136:139], v42, s[84:87], 0 offen     // 0000000058B0: E05C1000 8095882A
	buffer_load_dwordx4 a[140:143], v42, s[84:87], 0 offen offset:1024// 0000000058B8: E05C1400 80958C2A
	buffer_load_dword v33, s[20:23], 0 offen lds               // 0000000058C0: E0511000 80050021
	s_add_u32 m0, 0x100, s49                                   // 0000000058C8: 807C31FF 00000100
	buffer_load_dword v34, s[20:23], 0 offen lds               // 0000000058D0: E0511000 80050022
	s_add_u32 m0, 0, s48                                       // 0000000058D8: 807C3080
	s_waitcnt vmcnt(2)                                         // 0000000058DC: BF8C0F72
	v_mfma_f32_16x16x32_fp8_fp8 v[76:79], a[80:81], a[8:9], v[76:79]// 0000000058E0: D3F3004C 1D321150
	buffer_load_dwordx4 a[16:19], v35, s[24:27], 0 offen       // 0000000058E8: E05C1000 80861023
	v_mfma_f32_16x16x32_fp8_fp8 v[76:79], a[82:83], a[10:11], v[76:79]// 0000000058F0: D3F3004C 1D321552
	v_mfma_f32_16x16x32_fp8_fp8 v[76:79], a[84:85], a[12:13], v[76:79]// 0000000058F8: D3F3004C 1D321954
	ds_read_b128 a[0:3], v2                                    // 000000005900: DBFE0000 00000002
	ds_read_b128 a[4:7], v2 offset:64                          // 000000005908: DBFE0040 04000002
	v_mfma_f32_16x16x32_fp8_fp8 v[76:79], a[86:87], a[14:15], v[76:79]// 000000005910: D3F3004C 1D321D56
	v_mfma_f32_16x16x32_fp8_fp8 v[80:83], a[88:89], a[8:9], v[80:83]// 000000005918: D3F30050 1D421158
	buffer_load_dwordx4 a[20:23], v35, s[24:27], 0 offen offset:1024// 000000005920: E05C1400 80861423
	v_mfma_f32_16x16x32_fp8_fp8 v[80:83], a[90:91], a[10:11], v[80:83]// 000000005928: D3F30050 1D42155A
	v_mfma_f32_16x16x32_fp8_fp8 v[80:83], a[92:93], a[12:13], v[80:83]// 000000005930: D3F30050 1D42195C
	v_mfma_f32_16x16x32_fp8_fp8 v[80:83], a[94:95], a[14:15], v[80:83]// 000000005938: D3F30050 1D421D5E
	v_mfma_f32_16x16x32_fp8_fp8 v[84:87], a[96:97], a[8:9], v[84:87]// 000000005940: D3F30054 1D521160
	buffer_load_dwordx4 a[24:27], v36, s[24:27], 0 offen       // 000000005948: E05C1000 80861824
	v_mfma_f32_16x16x32_fp8_fp8 v[84:87], a[98:99], a[10:11], v[84:87]// 000000005950: D3F30054 1D521562
	v_mfma_f32_16x16x32_fp8_fp8 v[84:87], a[100:101], a[12:13], v[84:87]// 000000005958: D3F30054 1D521964
	v_mfma_f32_16x16x32_fp8_fp8 v[84:87], a[102:103], a[14:15], v[84:87]// 000000005960: D3F30054 1D521D66
	v_mfma_f32_16x16x32_fp8_fp8 v[88:91], a[104:105], a[8:9], v[88:91]// 000000005968: D3F30058 1D621168
	buffer_load_dwordx4 a[28:31], v36, s[24:27], 0 offen offset:1024// 000000005970: E05C1400 80861C24
	v_mfma_f32_16x16x32_fp8_fp8 v[88:91], a[106:107], a[10:11], v[88:91]// 000000005978: D3F30058 1D62156A
	v_mfma_f32_16x16x32_fp8_fp8 v[88:91], a[108:109], a[12:13], v[88:91]// 000000005980: D3F30058 1D62196C
	v_mfma_f32_16x16x32_fp8_fp8 v[88:91], a[110:111], a[14:15], v[88:91]// 000000005988: D3F30058 1D621D6E
	v_mfma_f32_16x16x32_fp8_fp8 v[92:95], a[112:113], a[8:9], v[92:95]// 000000005990: D3F3005C 1D721170
	buffer_load_dwordx4 a[32:35], v37, s[24:27], 0 offen       // 000000005998: E05C1000 80862025
	v_mfma_f32_16x16x32_fp8_fp8 v[92:95], a[114:115], a[10:11], v[92:95]// 0000000059A0: D3F3005C 1D721572
	v_mfma_f32_16x16x32_fp8_fp8 v[92:95], a[116:117], a[12:13], v[92:95]// 0000000059A8: D3F3005C 1D721974
	v_mfma_f32_16x16x32_fp8_fp8 v[92:95], a[118:119], a[14:15], v[92:95]// 0000000059B0: D3F3005C 1D721D76
	v_mfma_f32_16x16x32_fp8_fp8 v[96:99], a[120:121], a[8:9], v[96:99]// 0000000059B8: D3F30060 1D821178
	buffer_load_dwordx4 a[36:39], v37, s[24:27], 0 offen offset:1024// 0000000059C0: E05C1400 80862425
	v_mfma_f32_16x16x32_fp8_fp8 v[96:99], a[122:123], a[10:11], v[96:99]// 0000000059C8: D3F30060 1D82157A
	v_mfma_f32_16x16x32_fp8_fp8 v[96:99], a[124:125], a[12:13], v[96:99]// 0000000059D0: D3F30060 1D82197C
	v_mfma_f32_16x16x32_fp8_fp8 v[96:99], a[126:127], a[14:15], v[96:99]// 0000000059D8: D3F30060 1D821D7E
	v_mfma_f32_16x16x32_fp8_fp8 v[100:103], a[128:129], a[8:9], v[100:103]// 0000000059E0: D3F30064 1D921180
	buffer_load_dwordx4 a[40:43], v38, s[24:27], 0 offen       // 0000000059E8: E05C1000 80862826
	v_mfma_f32_16x16x32_fp8_fp8 v[100:103], a[130:131], a[10:11], v[100:103]// 0000000059F0: D3F30064 1D921582
	v_mfma_f32_16x16x32_fp8_fp8 v[100:103], a[132:133], a[12:13], v[100:103]// 0000000059F8: D3F30064 1D921984
	s_add_u32 s60, 0x180, s80                                  // 000000005A00: 803C50FF 00000180
	s_cmp_lt_u32 s60, s81                                      // 000000005A08: BF0A513C
	s_cselect_b32 s57, s57, 0                                  // 000000005A0C: 85398039
	v_mfma_f32_16x16x32_fp8_fp8 v[100:103], a[134:135], a[14:15], v[100:103]// 000000005A10: D3F30064 1D921D86
	s_add_u32 s60, 0x100, s80                                  // 000000005A18: 803C50FF 00000100
	s_cmp_lt_u32 s60, s81                                      // 000000005A20: BF0A513C
	s_cselect_b32 s58, s58, 0                                  // 000000005A24: 853A803A
	v_mfma_f32_16x16x32_fp8_fp8 v[104:107], a[136:137], a[8:9], v[104:107]// 000000005A28: D3F30068 1DA21188
	buffer_load_dwordx4 a[44:47], v38, s[24:27], 0 offen offset:1024// 000000005A30: E05C1400 80862C26
	v_mfma_f32_16x16x32_fp8_fp8 v[104:107], a[138:139], a[10:11], v[104:107]// 000000005A38: D3F30068 1DA2158A
	s_add_u32 s20, s57, s20                                    // 000000005A40: 80141439
	s_addc_u32 s21, 0, s21                                     // 000000005A44: 82151580
	v_mfma_f32_16x16x32_fp8_fp8 v[104:107], a[140:141], a[12:13], v[104:107]// 000000005A48: D3F30068 1DA2198C
	s_add_u32 s84, s83, s84                                    // 000000005A50: 80545453
	s_addc_u32 s85, 0, s85                                     // 000000005A54: 82555580
	v_mfma_f32_16x16x32_fp8_fp8 v[104:107], a[142:143], a[14:15], v[104:107]// 000000005A58: D3F30068 1DA21D8E
	buffer_load_dwordx4 a[48:51], v39, s[24:27], 0 offen       // 000000005A60: E05C1000 80863027
	buffer_load_dwordx4 a[52:55], v39, s[24:27], 0 offen offset:1024// 000000005A68: E05C1400 80863427
	buffer_load_dwordx4 a[56:59], v40, s[24:27], 0 offen       // 000000005A70: E05C1000 80863828
	buffer_load_dwordx4 a[60:63], v40, s[24:27], 0 offen offset:1024// 000000005A78: E05C1400 80863C28
	buffer_load_dwordx4 a[64:67], v41, s[24:27], 0 offen       // 000000005A80: E05C1000 80864029
	buffer_load_dwordx4 a[68:71], v41, s[24:27], 0 offen offset:1024// 000000005A88: E05C1400 80864429
	buffer_load_dwordx4 a[72:75], v42, s[24:27], 0 offen       // 000000005A90: E05C1000 8086482A
	buffer_load_dwordx4 a[76:79], v42, s[24:27], 0 offen offset:1024// 000000005A98: E05C1400 80864C2A
	s_add_u32 s24, s58, s24                                    // 000000005AA0: 8018183A
	s_addc_u32 s25, 0, s25                                     // 000000005AA4: 82191980
	s_addk_i32 s80, 0x80                                       // 000000005AA8: B7500080
	s_cmp_lt_i32 s80, s81                                      // 000000005AAC: BF045150
	s_cbranch_scc0 label_0C31                                  // 000000005AB0: BF840001
	s_branch label_0A5C                                        // 000000005AB4: BF82FE2B

0000000000005ab8 <label_0C31>:
	v_mul_f32_dpp v44, v25, v44 row_newbcast:0 row_mask:0xf bank_mask:0xf// 000000005AB8: 0A5858FA FF015019
	v_mul_f32_dpp v45, v25, v45 row_newbcast:1 row_mask:0xf bank_mask:0xf// 000000005AC0: 0A5A5AFA FF015119
	v_mul_f32_dpp v46, v25, v46 row_newbcast:2 row_mask:0xf bank_mask:0xf// 000000005AC8: 0A5C5CFA FF015219
	v_mul_f32_dpp v47, v25, v47 row_newbcast:3 row_mask:0xf bank_mask:0xf// 000000005AD0: 0A5E5EFA FF015319
	v_mul_f32_dpp v48, v25, v48 row_newbcast:4 row_mask:0xf bank_mask:0xf// 000000005AD8: 0A6060FA FF015419
	v_mul_f32_dpp v49, v25, v49 row_newbcast:5 row_mask:0xf bank_mask:0xf// 000000005AE0: 0A6262FA FF015519
	v_mul_f32_dpp v50, v25, v50 row_newbcast:6 row_mask:0xf bank_mask:0xf// 000000005AE8: 0A6464FA FF015619
	v_mul_f32_dpp v51, v25, v51 row_newbcast:7 row_mask:0xf bank_mask:0xf// 000000005AF0: 0A6666FA FF015719
	v_mul_f32_dpp v52, v25, v52 row_newbcast:8 row_mask:0xf bank_mask:0xf// 000000005AF8: 0A6868FA FF015819
	v_mul_f32_dpp v53, v25, v53 row_newbcast:9 row_mask:0xf bank_mask:0xf// 000000005B00: 0A6A6AFA FF015919
	v_mul_f32_dpp v54, v25, v54 row_newbcast:10 row_mask:0xf bank_mask:0xf// 000000005B08: 0A6C6CFA FF015A19
	v_mul_f32_dpp v55, v25, v55 row_newbcast:11 row_mask:0xf bank_mask:0xf// 000000005B10: 0A6E6EFA FF015B19
	v_mul_f32_dpp v56, v25, v56 row_newbcast:12 row_mask:0xf bank_mask:0xf// 000000005B18: 0A7070FA FF015C19
	v_mul_f32_dpp v57, v25, v57 row_newbcast:13 row_mask:0xf bank_mask:0xf// 000000005B20: 0A7272FA FF015D19
	v_mul_f32_dpp v58, v25, v58 row_newbcast:14 row_mask:0xf bank_mask:0xf// 000000005B28: 0A7474FA FF015E19
	v_mul_f32_dpp v59, v25, v59 row_newbcast:15 row_mask:0xf bank_mask:0xf// 000000005B30: 0A7676FA FF015F19
	v_mul_f32_dpp v60, v26, v60 row_newbcast:0 row_mask:0xf bank_mask:0xf// 000000005B38: 0A7878FA FF01501A
	v_mul_f32_dpp v61, v26, v61 row_newbcast:1 row_mask:0xf bank_mask:0xf// 000000005B40: 0A7A7AFA FF01511A
	v_mul_f32_dpp v62, v26, v62 row_newbcast:2 row_mask:0xf bank_mask:0xf// 000000005B48: 0A7C7CFA FF01521A
	v_mul_f32_dpp v63, v26, v63 row_newbcast:3 row_mask:0xf bank_mask:0xf// 000000005B50: 0A7E7EFA FF01531A
	v_mul_f32_dpp v64, v26, v64 row_newbcast:4 row_mask:0xf bank_mask:0xf// 000000005B58: 0A8080FA FF01541A
	v_mul_f32_dpp v65, v26, v65 row_newbcast:5 row_mask:0xf bank_mask:0xf// 000000005B60: 0A8282FA FF01551A
	v_mul_f32_dpp v66, v26, v66 row_newbcast:6 row_mask:0xf bank_mask:0xf// 000000005B68: 0A8484FA FF01561A
	v_mul_f32_dpp v67, v26, v67 row_newbcast:7 row_mask:0xf bank_mask:0xf// 000000005B70: 0A8686FA FF01571A
	v_mul_f32_dpp v68, v26, v68 row_newbcast:8 row_mask:0xf bank_mask:0xf// 000000005B78: 0A8888FA FF01581A
	v_mul_f32_dpp v69, v26, v69 row_newbcast:9 row_mask:0xf bank_mask:0xf// 000000005B80: 0A8A8AFA FF01591A
	v_mul_f32_dpp v70, v26, v70 row_newbcast:10 row_mask:0xf bank_mask:0xf// 000000005B88: 0A8C8CFA FF015A1A
	v_mul_f32_dpp v71, v26, v71 row_newbcast:11 row_mask:0xf bank_mask:0xf// 000000005B90: 0A8E8EFA FF015B1A
	v_mul_f32_dpp v72, v26, v72 row_newbcast:12 row_mask:0xf bank_mask:0xf// 000000005B98: 0A9090FA FF015C1A
	v_mul_f32_dpp v73, v26, v73 row_newbcast:13 row_mask:0xf bank_mask:0xf// 000000005BA0: 0A9292FA FF015D1A
	v_mul_f32_dpp v74, v26, v74 row_newbcast:14 row_mask:0xf bank_mask:0xf// 000000005BA8: 0A9494FA FF015E1A
	v_mul_f32_dpp v75, v26, v75 row_newbcast:15 row_mask:0xf bank_mask:0xf// 000000005BB0: 0A9696FA FF015F1A
	v_mul_f32_dpp v76, v27, v76 row_newbcast:0 row_mask:0xf bank_mask:0xf// 000000005BB8: 0A9898FA FF01501B
	v_mul_f32_dpp v77, v27, v77 row_newbcast:1 row_mask:0xf bank_mask:0xf// 000000005BC0: 0A9A9AFA FF01511B
	v_mul_f32_dpp v78, v27, v78 row_newbcast:2 row_mask:0xf bank_mask:0xf// 000000005BC8: 0A9C9CFA FF01521B
	v_mul_f32_dpp v79, v27, v79 row_newbcast:3 row_mask:0xf bank_mask:0xf// 000000005BD0: 0A9E9EFA FF01531B
	v_mul_f32_dpp v80, v27, v80 row_newbcast:4 row_mask:0xf bank_mask:0xf// 000000005BD8: 0AA0A0FA FF01541B
	v_mul_f32_dpp v81, v27, v81 row_newbcast:5 row_mask:0xf bank_mask:0xf// 000000005BE0: 0AA2A2FA FF01551B
	v_mul_f32_dpp v82, v27, v82 row_newbcast:6 row_mask:0xf bank_mask:0xf// 000000005BE8: 0AA4A4FA FF01561B
	v_mul_f32_dpp v83, v27, v83 row_newbcast:7 row_mask:0xf bank_mask:0xf// 000000005BF0: 0AA6A6FA FF01571B
	v_mul_f32_dpp v84, v27, v84 row_newbcast:8 row_mask:0xf bank_mask:0xf// 000000005BF8: 0AA8A8FA FF01581B
	v_mul_f32_dpp v85, v27, v85 row_newbcast:9 row_mask:0xf bank_mask:0xf// 000000005C00: 0AAAAAFA FF01591B
	v_mul_f32_dpp v86, v27, v86 row_newbcast:10 row_mask:0xf bank_mask:0xf// 000000005C08: 0AACACFA FF015A1B
	v_mul_f32_dpp v87, v27, v87 row_newbcast:11 row_mask:0xf bank_mask:0xf// 000000005C10: 0AAEAEFA FF015B1B
	v_mul_f32_dpp v88, v27, v88 row_newbcast:12 row_mask:0xf bank_mask:0xf// 000000005C18: 0AB0B0FA FF015C1B
	v_mul_f32_dpp v89, v27, v89 row_newbcast:13 row_mask:0xf bank_mask:0xf// 000000005C20: 0AB2B2FA FF015D1B
	v_mul_f32_dpp v90, v27, v90 row_newbcast:14 row_mask:0xf bank_mask:0xf// 000000005C28: 0AB4B4FA FF015E1B
	v_mul_f32_dpp v91, v27, v91 row_newbcast:15 row_mask:0xf bank_mask:0xf// 000000005C30: 0AB6B6FA FF015F1B
	v_mul_f32_dpp v92, v28, v92 row_newbcast:0 row_mask:0xf bank_mask:0xf// 000000005C38: 0AB8B8FA FF01501C
	v_mul_f32_dpp v93, v28, v93 row_newbcast:1 row_mask:0xf bank_mask:0xf// 000000005C40: 0ABABAFA FF01511C
	v_mul_f32_dpp v94, v28, v94 row_newbcast:2 row_mask:0xf bank_mask:0xf// 000000005C48: 0ABCBCFA FF01521C
	v_mul_f32_dpp v95, v28, v95 row_newbcast:3 row_mask:0xf bank_mask:0xf// 000000005C50: 0ABEBEFA FF01531C
	v_mul_f32_dpp v96, v28, v96 row_newbcast:4 row_mask:0xf bank_mask:0xf// 000000005C58: 0AC0C0FA FF01541C
	v_mul_f32_dpp v97, v28, v97 row_newbcast:5 row_mask:0xf bank_mask:0xf// 000000005C60: 0AC2C2FA FF01551C
	v_mul_f32_dpp v98, v28, v98 row_newbcast:6 row_mask:0xf bank_mask:0xf// 000000005C68: 0AC4C4FA FF01561C
	v_mul_f32_dpp v99, v28, v99 row_newbcast:7 row_mask:0xf bank_mask:0xf// 000000005C70: 0AC6C6FA FF01571C
	v_mul_f32_dpp v100, v28, v100 row_newbcast:8 row_mask:0xf bank_mask:0xf// 000000005C78: 0AC8C8FA FF01581C
	v_mul_f32_dpp v101, v28, v101 row_newbcast:9 row_mask:0xf bank_mask:0xf// 000000005C80: 0ACACAFA FF01591C
	v_mul_f32_dpp v102, v28, v102 row_newbcast:10 row_mask:0xf bank_mask:0xf// 000000005C88: 0ACCCCFA FF015A1C
	v_mul_f32_dpp v103, v28, v103 row_newbcast:11 row_mask:0xf bank_mask:0xf// 000000005C90: 0ACECEFA FF015B1C
	v_mul_f32_dpp v104, v28, v104 row_newbcast:12 row_mask:0xf bank_mask:0xf// 000000005C98: 0AD0D0FA FF015C1C
	v_mul_f32_dpp v105, v28, v105 row_newbcast:13 row_mask:0xf bank_mask:0xf// 000000005CA0: 0AD2D2FA FF015D1C
	v_mul_f32_dpp v106, v28, v106 row_newbcast:14 row_mask:0xf bank_mask:0xf// 000000005CA8: 0AD4D4FA FF015E1C
	v_mul_f32_dpp v107, v28, v107 row_newbcast:15 row_mask:0xf bank_mask:0xf// 000000005CB0: 0AD6D6FA FF015F1C
	v_mov_b32_e32 v4, v30                                      // 000000005CB8: 7E08031E
	v_mov_b32_e32 v5, v4                                       // 000000005CBC: 7E0A0304
	v_pk_mul_f32 v[44:45], v[4:5], v[44:45]                    // 000000005CC0: D3B1402C 18025904
	v_pk_mul_f32 v[76:77], v[4:5], v[76:77]                    // 000000005CC8: D3B1404C 18029904
	v_pk_mul_f32 v[46:47], v[4:5], v[46:47]                    // 000000005CD0: D3B1402E 18025D04
	v_pk_mul_f32 v[78:79], v[4:5], v[78:79]                    // 000000005CD8: D3B1404E 18029D04
	v_pk_mul_f32 v[48:49], v[4:5], v[48:49]                    // 000000005CE0: D3B14030 18026104
	v_pk_mul_f32 v[80:81], v[4:5], v[80:81]                    // 000000005CE8: D3B14050 1802A104
	v_pk_mul_f32 v[50:51], v[4:5], v[50:51]                    // 000000005CF0: D3B14032 18026504
	v_pk_mul_f32 v[82:83], v[4:5], v[82:83]                    // 000000005CF8: D3B14052 1802A504
	v_pk_mul_f32 v[52:53], v[4:5], v[52:53]                    // 000000005D00: D3B14034 18026904
	v_pk_mul_f32 v[84:85], v[4:5], v[84:85]                    // 000000005D08: D3B14054 1802A904
	v_pk_mul_f32 v[54:55], v[4:5], v[54:55]                    // 000000005D10: D3B14036 18026D04
	v_pk_mul_f32 v[86:87], v[4:5], v[86:87]                    // 000000005D18: D3B14056 1802AD04
	v_pk_mul_f32 v[56:57], v[4:5], v[56:57]                    // 000000005D20: D3B14038 18027104
	v_pk_mul_f32 v[88:89], v[4:5], v[88:89]                    // 000000005D28: D3B14058 1802B104
	v_pk_mul_f32 v[58:59], v[4:5], v[58:59]                    // 000000005D30: D3B1403A 18027504
	v_pk_mul_f32 v[90:91], v[4:5], v[90:91]                    // 000000005D38: D3B1405A 1802B504
	v_pk_mul_f32 v[60:61], v[4:5], v[60:61]                    // 000000005D40: D3B1403C 18027904
	v_pk_mul_f32 v[92:93], v[4:5], v[92:93]                    // 000000005D48: D3B1405C 1802B904
	v_pk_mul_f32 v[62:63], v[4:5], v[62:63]                    // 000000005D50: D3B1403E 18027D04
	v_pk_mul_f32 v[94:95], v[4:5], v[94:95]                    // 000000005D58: D3B1405E 1802BD04
	v_pk_mul_f32 v[64:65], v[4:5], v[64:65]                    // 000000005D60: D3B14040 18028104
	v_pk_mul_f32 v[96:97], v[4:5], v[96:97]                    // 000000005D68: D3B14060 1802C104
	v_pk_mul_f32 v[66:67], v[4:5], v[66:67]                    // 000000005D70: D3B14042 18028504
	v_pk_mul_f32 v[98:99], v[4:5], v[98:99]                    // 000000005D78: D3B14062 1802C504
	v_pk_mul_f32 v[68:69], v[4:5], v[68:69]                    // 000000005D80: D3B14044 18028904
	v_pk_mul_f32 v[100:101], v[4:5], v[100:101]                // 000000005D88: D3B14064 1802C904
	v_pk_mul_f32 v[70:71], v[4:5], v[70:71]                    // 000000005D90: D3B14046 18028D04
	v_pk_mul_f32 v[102:103], v[4:5], v[102:103]                // 000000005D98: D3B14066 1802CD04
	v_pk_mul_f32 v[72:73], v[4:5], v[72:73]                    // 000000005DA0: D3B14048 18029104
	v_pk_mul_f32 v[104:105], v[4:5], v[104:105]                // 000000005DA8: D3B14068 1802D104
	v_pk_mul_f32 v[74:75], v[4:5], v[74:75]                    // 000000005DB0: D3B1404A 18029504
	v_pk_mul_f32 v[106:107], v[4:5], v[106:107]                // 000000005DB8: D3B1406A 1802D504
	s_cmp_eq_u32 s88, 0                                        // 000000005DC0: BF068058
	s_cbranch_scc0 label_10D2                                  // 000000005DC4: BF8403DD
	s_cmp_eq_u32 s89, 0                                        // 000000005DC8: BF068059
	s_cbranch_scc1 label_0E3C                                  // 000000005DCC: BF850145
	v_mov_b32_e32 v8, v1                                       // 000000005DD0: 7E100301
	v_mov_b32_e32 v9, v1                                       // 000000005DD4: 7E120301
	s_mov_b32 s60, s6                                          // 000000005DD8: BEBC0006
	s_mov_b32 s61, s6                                          // 000000005DDC: BEBD0006
	v_pk_mul_f32 v[4:5], v[44:45], v[44:45]                    // 000000005DE0: D3B14004 1802592C
	v_pk_mul_f32 v[6:7], v[46:47], v[46:47]                    // 000000005DE8: D3B14006 18025D2E
	v_pk_fma_f32 v[4:5], v[4:5], s[78:79], v[8:9]              // 000000005DF0: D3B04004 1C209D04
	v_pk_fma_f32 v[6:7], v[6:7], s[78:79], v[8:9]              // 000000005DF8: D3B04006 1C209D06
	v_pk_mul_f32 v[4:5], v[4:5], v[44:45]                      // 000000005E00: D3B14004 18025904
	v_pk_mul_f32 v[6:7], v[6:7], v[46:47]                      // 000000005E08: D3B14006 18025D06
	v_pk_mul_f32 v[4:5], v[4:5], s[60:61]                      // 000000005E10: D3B14004 18007904
	v_pk_mul_f32 v[6:7], v[6:7], s[60:61]                      // 000000005E18: D3B14006 18007906
	v_exp_f32_e32 v4, v4                                       // 000000005E20: 7E084104
	v_exp_f32_e32 v5, v5                                       // 000000005E24: 7E0A4105
	v_exp_f32_e32 v6, v6                                       // 000000005E28: 7E0C4106
	v_exp_f32_e32 v7, v7                                       // 000000005E2C: 7E0E4107
	v_add_f32_e64 v4, v4, 1.0                                  // 000000005E30: D1010004 0001E504
	v_add_f32_e64 v5, v5, 1.0                                  // 000000005E38: D1010005 0001E505
	v_add_f32_e64 v6, v6, 1.0                                  // 000000005E40: D1010006 0001E506
	v_add_f32_e64 v7, v7, 1.0                                  // 000000005E48: D1010007 0001E507
	v_rcp_f32_e32 v4, v4                                       // 000000005E50: 7E084504
	v_rcp_f32_e32 v5, v5                                       // 000000005E54: 7E0A4505
	v_rcp_f32_e32 v6, v6                                       // 000000005E58: 7E0C4506
	v_rcp_f32_e32 v7, v7                                       // 000000005E5C: 7E0E4507
	v_mul_f32_e32 v44, v44, v4                                 // 000000005E60: 0A58092C
	v_mul_f32_e32 v45, v45, v5                                 // 000000005E64: 0A5A0B2D
	v_mul_f32_e32 v46, v46, v6                                 // 000000005E68: 0A5C0D2E
	v_mul_f32_e32 v47, v47, v7                                 // 000000005E6C: 0A5E0F2F
	v_mul_f32_e32 v44, v44, v76                                // 000000005E70: 0A58992C
	v_mul_f32_e32 v45, v45, v77                                // 000000005E74: 0A5A9B2D
	v_mul_f32_e32 v46, v46, v78                                // 000000005E78: 0A5C9D2E
	v_mul_f32_e32 v47, v47, v79                                // 000000005E7C: 0A5E9F2F
	v_pk_mul_f32 v[4:5], v[48:49], v[48:49]                    // 000000005E80: D3B14004 18026130
	v_pk_mul_f32 v[6:7], v[50:51], v[50:51]                    // 000000005E88: D3B14006 18026532
	v_pk_fma_f32 v[4:5], v[4:5], s[78:79], v[8:9]              // 000000005E90: D3B04004 1C209D04
	v_pk_fma_f32 v[6:7], v[6:7], s[78:79], v[8:9]              // 000000005E98: D3B04006 1C209D06
	v_pk_mul_f32 v[4:5], v[4:5], v[48:49]                      // 000000005EA0: D3B14004 18026104
	v_pk_mul_f32 v[6:7], v[6:7], v[50:51]                      // 000000005EA8: D3B14006 18026506
	v_pk_mul_f32 v[4:5], v[4:5], s[60:61]                      // 000000005EB0: D3B14004 18007904
	v_pk_mul_f32 v[6:7], v[6:7], s[60:61]                      // 000000005EB8: D3B14006 18007906
	v_exp_f32_e32 v4, v4                                       // 000000005EC0: 7E084104
	v_exp_f32_e32 v5, v5                                       // 000000005EC4: 7E0A4105
	v_exp_f32_e32 v6, v6                                       // 000000005EC8: 7E0C4106
	v_exp_f32_e32 v7, v7                                       // 000000005ECC: 7E0E4107
	v_add_f32_e64 v4, v4, 1.0                                  // 000000005ED0: D1010004 0001E504
	v_add_f32_e64 v5, v5, 1.0                                  // 000000005ED8: D1010005 0001E505
	v_add_f32_e64 v6, v6, 1.0                                  // 000000005EE0: D1010006 0001E506
	v_add_f32_e64 v7, v7, 1.0                                  // 000000005EE8: D1010007 0001E507
	v_rcp_f32_e32 v4, v4                                       // 000000005EF0: 7E084504
	v_rcp_f32_e32 v5, v5                                       // 000000005EF4: 7E0A4505
	v_rcp_f32_e32 v6, v6                                       // 000000005EF8: 7E0C4506
	v_rcp_f32_e32 v7, v7                                       // 000000005EFC: 7E0E4507
	v_mul_f32_e32 v48, v48, v4                                 // 000000005F00: 0A600930
	v_mul_f32_e32 v49, v49, v5                                 // 000000005F04: 0A620B31
	v_mul_f32_e32 v50, v50, v6                                 // 000000005F08: 0A640D32
	v_mul_f32_e32 v51, v51, v7                                 // 000000005F0C: 0A660F33
	v_mul_f32_e32 v48, v48, v80                                // 000000005F10: 0A60A130
	v_mul_f32_e32 v49, v49, v81                                // 000000005F14: 0A62A331
	v_mul_f32_e32 v50, v50, v82                                // 000000005F18: 0A64A532
	v_mul_f32_e32 v51, v51, v83                                // 000000005F1C: 0A66A733
	v_pk_mul_f32 v[4:5], v[52:53], v[52:53]                    // 000000005F20: D3B14004 18026934
	v_pk_mul_f32 v[6:7], v[54:55], v[54:55]                    // 000000005F28: D3B14006 18026D36
	v_pk_fma_f32 v[4:5], v[4:5], s[78:79], v[8:9]              // 000000005F30: D3B04004 1C209D04
	v_pk_fma_f32 v[6:7], v[6:7], s[78:79], v[8:9]              // 000000005F38: D3B04006 1C209D06
	v_pk_mul_f32 v[4:5], v[4:5], v[52:53]                      // 000000005F40: D3B14004 18026904
	v_pk_mul_f32 v[6:7], v[6:7], v[54:55]                      // 000000005F48: D3B14006 18026D06
	v_pk_mul_f32 v[4:5], v[4:5], s[60:61]                      // 000000005F50: D3B14004 18007904
	v_pk_mul_f32 v[6:7], v[6:7], s[60:61]                      // 000000005F58: D3B14006 18007906
	v_exp_f32_e32 v4, v4                                       // 000000005F60: 7E084104
	v_exp_f32_e32 v5, v5                                       // 000000005F64: 7E0A4105
	v_exp_f32_e32 v6, v6                                       // 000000005F68: 7E0C4106
	v_exp_f32_e32 v7, v7                                       // 000000005F6C: 7E0E4107
	v_add_f32_e64 v4, v4, 1.0                                  // 000000005F70: D1010004 0001E504
	v_add_f32_e64 v5, v5, 1.0                                  // 000000005F78: D1010005 0001E505
	v_add_f32_e64 v6, v6, 1.0                                  // 000000005F80: D1010006 0001E506
	v_add_f32_e64 v7, v7, 1.0                                  // 000000005F88: D1010007 0001E507
	v_rcp_f32_e32 v4, v4                                       // 000000005F90: 7E084504
	v_rcp_f32_e32 v5, v5                                       // 000000005F94: 7E0A4505
	v_rcp_f32_e32 v6, v6                                       // 000000005F98: 7E0C4506
	v_rcp_f32_e32 v7, v7                                       // 000000005F9C: 7E0E4507
	v_mul_f32_e32 v52, v52, v4                                 // 000000005FA0: 0A680934
	v_mul_f32_e32 v53, v53, v5                                 // 000000005FA4: 0A6A0B35
	v_mul_f32_e32 v54, v54, v6                                 // 000000005FA8: 0A6C0D36
	v_mul_f32_e32 v55, v55, v7                                 // 000000005FAC: 0A6E0F37
	v_mul_f32_e32 v52, v52, v84                                // 000000005FB0: 0A68A934
	v_mul_f32_e32 v53, v53, v85                                // 000000005FB4: 0A6AAB35
	v_mul_f32_e32 v54, v54, v86                                // 000000005FB8: 0A6CAD36
	v_mul_f32_e32 v55, v55, v87                                // 000000005FBC: 0A6EAF37
	v_pk_mul_f32 v[4:5], v[56:57], v[56:57]                    // 000000005FC0: D3B14004 18027138
	v_pk_mul_f32 v[6:7], v[58:59], v[58:59]                    // 000000005FC8: D3B14006 1802753A
	v_pk_fma_f32 v[4:5], v[4:5], s[78:79], v[8:9]              // 000000005FD0: D3B04004 1C209D04
	v_pk_fma_f32 v[6:7], v[6:7], s[78:79], v[8:9]              // 000000005FD8: D3B04006 1C209D06
	v_pk_mul_f32 v[4:5], v[4:5], v[56:57]                      // 000000005FE0: D3B14004 18027104
	v_pk_mul_f32 v[6:7], v[6:7], v[58:59]                      // 000000005FE8: D3B14006 18027506
	v_pk_mul_f32 v[4:5], v[4:5], s[60:61]                      // 000000005FF0: D3B14004 18007904
	v_pk_mul_f32 v[6:7], v[6:7], s[60:61]                      // 000000005FF8: D3B14006 18007906
	v_exp_f32_e32 v4, v4                                       // 000000006000: 7E084104
	v_exp_f32_e32 v5, v5                                       // 000000006004: 7E0A4105
	v_exp_f32_e32 v6, v6                                       // 000000006008: 7E0C4106
	v_exp_f32_e32 v7, v7                                       // 00000000600C: 7E0E4107
	v_add_f32_e64 v4, v4, 1.0                                  // 000000006010: D1010004 0001E504
	v_add_f32_e64 v5, v5, 1.0                                  // 000000006018: D1010005 0001E505
	v_add_f32_e64 v6, v6, 1.0                                  // 000000006020: D1010006 0001E506
	v_add_f32_e64 v7, v7, 1.0                                  // 000000006028: D1010007 0001E507
	v_rcp_f32_e32 v4, v4                                       // 000000006030: 7E084504
	v_rcp_f32_e32 v5, v5                                       // 000000006034: 7E0A4505
	v_rcp_f32_e32 v6, v6                                       // 000000006038: 7E0C4506
	v_rcp_f32_e32 v7, v7                                       // 00000000603C: 7E0E4507
	v_mul_f32_e32 v56, v56, v4                                 // 000000006040: 0A700938
	v_mul_f32_e32 v57, v57, v5                                 // 000000006044: 0A720B39
	v_mul_f32_e32 v58, v58, v6                                 // 000000006048: 0A740D3A
	v_mul_f32_e32 v59, v59, v7                                 // 00000000604C: 0A760F3B
	v_mul_f32_e32 v56, v56, v88                                // 000000006050: 0A70B138
	v_mul_f32_e32 v57, v57, v89                                // 000000006054: 0A72B339
	v_mul_f32_e32 v58, v58, v90                                // 000000006058: 0A74B53A
	v_mul_f32_e32 v59, v59, v91                                // 00000000605C: 0A76B73B
	v_pk_mul_f32 v[4:5], v[60:61], v[60:61]                    // 000000006060: D3B14004 1802793C
	v_pk_mul_f32 v[6:7], v[62:63], v[62:63]                    // 000000006068: D3B14006 18027D3E
	v_pk_fma_f32 v[4:5], v[4:5], s[78:79], v[8:9]              // 000000006070: D3B04004 1C209D04
	v_pk_fma_f32 v[6:7], v[6:7], s[78:79], v[8:9]              // 000000006078: D3B04006 1C209D06
	v_pk_mul_f32 v[4:5], v[4:5], v[60:61]                      // 000000006080: D3B14004 18027904
	v_pk_mul_f32 v[6:7], v[6:7], v[62:63]                      // 000000006088: D3B14006 18027D06
	v_pk_mul_f32 v[4:5], v[4:5], s[60:61]                      // 000000006090: D3B14004 18007904
	v_pk_mul_f32 v[6:7], v[6:7], s[60:61]                      // 000000006098: D3B14006 18007906
	v_exp_f32_e32 v4, v4                                       // 0000000060A0: 7E084104
	v_exp_f32_e32 v5, v5                                       // 0000000060A4: 7E0A4105
	v_exp_f32_e32 v6, v6                                       // 0000000060A8: 7E0C4106
	v_exp_f32_e32 v7, v7                                       // 0000000060AC: 7E0E4107
	v_add_f32_e64 v4, v4, 1.0                                  // 0000000060B0: D1010004 0001E504
	v_add_f32_e64 v5, v5, 1.0                                  // 0000000060B8: D1010005 0001E505
	v_add_f32_e64 v6, v6, 1.0                                  // 0000000060C0: D1010006 0001E506
	v_add_f32_e64 v7, v7, 1.0                                  // 0000000060C8: D1010007 0001E507
	v_rcp_f32_e32 v4, v4                                       // 0000000060D0: 7E084504
	v_rcp_f32_e32 v5, v5                                       // 0000000060D4: 7E0A4505
	v_rcp_f32_e32 v6, v6                                       // 0000000060D8: 7E0C4506
	v_rcp_f32_e32 v7, v7                                       // 0000000060DC: 7E0E4507
	v_mul_f32_e32 v60, v60, v4                                 // 0000000060E0: 0A78093C
	v_mul_f32_e32 v61, v61, v5                                 // 0000000060E4: 0A7A0B3D
	v_mul_f32_e32 v62, v62, v6                                 // 0000000060E8: 0A7C0D3E
	v_mul_f32_e32 v63, v63, v7                                 // 0000000060EC: 0A7E0F3F
	v_mul_f32_e32 v60, v60, v92                                // 0000000060F0: 0A78B93C
	v_mul_f32_e32 v61, v61, v93                                // 0000000060F4: 0A7ABB3D
	v_mul_f32_e32 v62, v62, v94                                // 0000000060F8: 0A7CBD3E
	v_mul_f32_e32 v63, v63, v95                                // 0000000060FC: 0A7EBF3F
	v_pk_mul_f32 v[4:5], v[64:65], v[64:65]                    // 000000006100: D3B14004 18028140
	v_pk_mul_f32 v[6:7], v[66:67], v[66:67]                    // 000000006108: D3B14006 18028542
	v_pk_fma_f32 v[4:5], v[4:5], s[78:79], v[8:9]              // 000000006110: D3B04004 1C209D04
	v_pk_fma_f32 v[6:7], v[6:7], s[78:79], v[8:9]              // 000000006118: D3B04006 1C209D06
	v_pk_mul_f32 v[4:5], v[4:5], v[64:65]                      // 000000006120: D3B14004 18028104
	v_pk_mul_f32 v[6:7], v[6:7], v[66:67]                      // 000000006128: D3B14006 18028506
	v_pk_mul_f32 v[4:5], v[4:5], s[60:61]                      // 000000006130: D3B14004 18007904
	v_pk_mul_f32 v[6:7], v[6:7], s[60:61]                      // 000000006138: D3B14006 18007906
	v_exp_f32_e32 v4, v4                                       // 000000006140: 7E084104
	v_exp_f32_e32 v5, v5                                       // 000000006144: 7E0A4105
	v_exp_f32_e32 v6, v6                                       // 000000006148: 7E0C4106
	v_exp_f32_e32 v7, v7                                       // 00000000614C: 7E0E4107
	v_add_f32_e64 v4, v4, 1.0                                  // 000000006150: D1010004 0001E504
	v_add_f32_e64 v5, v5, 1.0                                  // 000000006158: D1010005 0001E505
	v_add_f32_e64 v6, v6, 1.0                                  // 000000006160: D1010006 0001E506
	v_add_f32_e64 v7, v7, 1.0                                  // 000000006168: D1010007 0001E507
	v_rcp_f32_e32 v4, v4                                       // 000000006170: 7E084504
	v_rcp_f32_e32 v5, v5                                       // 000000006174: 7E0A4505
	v_rcp_f32_e32 v6, v6                                       // 000000006178: 7E0C4506
	v_rcp_f32_e32 v7, v7                                       // 00000000617C: 7E0E4507
	v_mul_f32_e32 v64, v64, v4                                 // 000000006180: 0A800940
	v_mul_f32_e32 v65, v65, v5                                 // 000000006184: 0A820B41
	v_mul_f32_e32 v66, v66, v6                                 // 000000006188: 0A840D42
	v_mul_f32_e32 v67, v67, v7                                 // 00000000618C: 0A860F43
	v_mul_f32_e32 v64, v64, v96                                // 000000006190: 0A80C140
	v_mul_f32_e32 v65, v65, v97                                // 000000006194: 0A82C341
	v_mul_f32_e32 v66, v66, v98                                // 000000006198: 0A84C542
	v_mul_f32_e32 v67, v67, v99                                // 00000000619C: 0A86C743
	v_pk_mul_f32 v[4:5], v[68:69], v[68:69]                    // 0000000061A0: D3B14004 18028944
	v_pk_mul_f32 v[6:7], v[70:71], v[70:71]                    // 0000000061A8: D3B14006 18028D46
	v_pk_fma_f32 v[4:5], v[4:5], s[78:79], v[8:9]              // 0000000061B0: D3B04004 1C209D04
	v_pk_fma_f32 v[6:7], v[6:7], s[78:79], v[8:9]              // 0000000061B8: D3B04006 1C209D06
	v_pk_mul_f32 v[4:5], v[4:5], v[68:69]                      // 0000000061C0: D3B14004 18028904
	v_pk_mul_f32 v[6:7], v[6:7], v[70:71]                      // 0000000061C8: D3B14006 18028D06
	v_pk_mul_f32 v[4:5], v[4:5], s[60:61]                      // 0000000061D0: D3B14004 18007904
	v_pk_mul_f32 v[6:7], v[6:7], s[60:61]                      // 0000000061D8: D3B14006 18007906
	v_exp_f32_e32 v4, v4                                       // 0000000061E0: 7E084104
	v_exp_f32_e32 v5, v5                                       // 0000000061E4: 7E0A4105
	v_exp_f32_e32 v6, v6                                       // 0000000061E8: 7E0C4106
	v_exp_f32_e32 v7, v7                                       // 0000000061EC: 7E0E4107
	v_add_f32_e64 v4, v4, 1.0                                  // 0000000061F0: D1010004 0001E504
	v_add_f32_e64 v5, v5, 1.0                                  // 0000000061F8: D1010005 0001E505
	v_add_f32_e64 v6, v6, 1.0                                  // 000000006200: D1010006 0001E506
	v_add_f32_e64 v7, v7, 1.0                                  // 000000006208: D1010007 0001E507
	v_rcp_f32_e32 v4, v4                                       // 000000006210: 7E084504
	v_rcp_f32_e32 v5, v5                                       // 000000006214: 7E0A4505
	v_rcp_f32_e32 v6, v6                                       // 000000006218: 7E0C4506
	v_rcp_f32_e32 v7, v7                                       // 00000000621C: 7E0E4507
	v_mul_f32_e32 v68, v68, v4                                 // 000000006220: 0A880944
	v_mul_f32_e32 v69, v69, v5                                 // 000000006224: 0A8A0B45
	v_mul_f32_e32 v70, v70, v6                                 // 000000006228: 0A8C0D46
	v_mul_f32_e32 v71, v71, v7                                 // 00000000622C: 0A8E0F47
	v_mul_f32_e32 v68, v68, v100                               // 000000006230: 0A88C944
	v_mul_f32_e32 v69, v69, v101                               // 000000006234: 0A8ACB45
	v_mul_f32_e32 v70, v70, v102                               // 000000006238: 0A8CCD46
	v_mul_f32_e32 v71, v71, v103                               // 00000000623C: 0A8ECF47
	v_pk_mul_f32 v[4:5], v[72:73], v[72:73]                    // 000000006240: D3B14004 18029148
	v_pk_mul_f32 v[6:7], v[74:75], v[74:75]                    // 000000006248: D3B14006 1802954A
	v_pk_fma_f32 v[4:5], v[4:5], s[78:79], v[8:9]              // 000000006250: D3B04004 1C209D04
	v_pk_fma_f32 v[6:7], v[6:7], s[78:79], v[8:9]              // 000000006258: D3B04006 1C209D06
	v_pk_mul_f32 v[4:5], v[4:5], v[72:73]                      // 000000006260: D3B14004 18029104
	v_pk_mul_f32 v[6:7], v[6:7], v[74:75]                      // 000000006268: D3B14006 18029506
	v_pk_mul_f32 v[4:5], v[4:5], s[60:61]                      // 000000006270: D3B14004 18007904
	v_pk_mul_f32 v[6:7], v[6:7], s[60:61]                      // 000000006278: D3B14006 18007906
	v_exp_f32_e32 v4, v4                                       // 000000006280: 7E084104
	v_exp_f32_e32 v5, v5                                       // 000000006284: 7E0A4105
	v_exp_f32_e32 v6, v6                                       // 000000006288: 7E0C4106
	v_exp_f32_e32 v7, v7                                       // 00000000628C: 7E0E4107
	v_add_f32_e64 v4, v4, 1.0                                  // 000000006290: D1010004 0001E504
	v_add_f32_e64 v5, v5, 1.0                                  // 000000006298: D1010005 0001E505
	v_add_f32_e64 v6, v6, 1.0                                  // 0000000062A0: D1010006 0001E506
	v_add_f32_e64 v7, v7, 1.0                                  // 0000000062A8: D1010007 0001E507
	v_rcp_f32_e32 v4, v4                                       // 0000000062B0: 7E084504
	v_rcp_f32_e32 v5, v5                                       // 0000000062B4: 7E0A4505
	v_rcp_f32_e32 v6, v6                                       // 0000000062B8: 7E0C4506
	v_rcp_f32_e32 v7, v7                                       // 0000000062BC: 7E0E4507
	v_mul_f32_e32 v72, v72, v4                                 // 0000000062C0: 0A900948
	v_mul_f32_e32 v73, v73, v5                                 // 0000000062C4: 0A920B49
	v_mul_f32_e32 v74, v74, v6                                 // 0000000062C8: 0A940D4A
	v_mul_f32_e32 v75, v75, v7                                 // 0000000062CC: 0A960F4B
	v_mul_f32_e32 v72, v72, v104                               // 0000000062D0: 0A90D148
	v_mul_f32_e32 v73, v73, v105                               // 0000000062D4: 0A92D349
	v_mul_f32_e32 v74, v74, v106                               // 0000000062D8: 0A94D54A
	v_mul_f32_e32 v75, v75, v107                               // 0000000062DC: 0A96D74B
	s_branch label_0F3C                                        // 0000000062E0: BF820100

00000000000062e4 <label_0E3C>:
	v_mul_f32_e64 v4, -v44, s6                                 // 0000000062E4: D1050004 20000D2C
	v_mul_f32_e64 v5, -v45, s6                                 // 0000000062EC: D1050005 20000D2D
	v_mul_f32_e64 v6, -v46, s6                                 // 0000000062F4: D1050006 20000D2E
	v_mul_f32_e64 v7, -v47, s6                                 // 0000000062FC: D1050007 20000D2F
	v_exp_f32_e32 v4, v4                                       // 000000006304: 7E084104
	v_exp_f32_e32 v5, v5                                       // 000000006308: 7E0A4105
	v_exp_f32_e32 v6, v6                                       // 00000000630C: 7E0C4106
	v_exp_f32_e32 v7, v7                                       // 000000006310: 7E0E4107
	v_add_f32_e64 v4, v4, 1.0                                  // 000000006314: D1010004 0001E504
	v_add_f32_e64 v5, v5, 1.0                                  // 00000000631C: D1010005 0001E505
	v_add_f32_e64 v6, v6, 1.0                                  // 000000006324: D1010006 0001E506
	v_add_f32_e64 v7, v7, 1.0                                  // 00000000632C: D1010007 0001E507
	v_rcp_f32_e32 v4, v4                                       // 000000006334: 7E084504
	v_rcp_f32_e32 v5, v5                                       // 000000006338: 7E0A4505
	v_rcp_f32_e32 v6, v6                                       // 00000000633C: 7E0C4506
	v_rcp_f32_e32 v7, v7                                       // 000000006340: 7E0E4507
	v_mul_f32_e32 v44, v44, v4                                 // 000000006344: 0A58092C
	v_mul_f32_e32 v45, v45, v5                                 // 000000006348: 0A5A0B2D
	v_mul_f32_e32 v46, v46, v6                                 // 00000000634C: 0A5C0D2E
	v_mul_f32_e32 v47, v47, v7                                 // 000000006350: 0A5E0F2F
	v_mul_f32_e32 v44, v44, v76                                // 000000006354: 0A58992C
	v_mul_f32_e32 v45, v45, v77                                // 000000006358: 0A5A9B2D
	v_mul_f32_e32 v46, v46, v78                                // 00000000635C: 0A5C9D2E
	v_mul_f32_e32 v47, v47, v79                                // 000000006360: 0A5E9F2F
	v_mul_f32_e64 v4, -v48, s6                                 // 000000006364: D1050004 20000D30
	v_mul_f32_e64 v5, -v49, s6                                 // 00000000636C: D1050005 20000D31
	v_mul_f32_e64 v6, -v50, s6                                 // 000000006374: D1050006 20000D32
	v_mul_f32_e64 v7, -v51, s6                                 // 00000000637C: D1050007 20000D33
	v_exp_f32_e32 v4, v4                                       // 000000006384: 7E084104
	v_exp_f32_e32 v5, v5                                       // 000000006388: 7E0A4105
	v_exp_f32_e32 v6, v6                                       // 00000000638C: 7E0C4106
	v_exp_f32_e32 v7, v7                                       // 000000006390: 7E0E4107
	v_add_f32_e64 v4, v4, 1.0                                  // 000000006394: D1010004 0001E504
	v_add_f32_e64 v5, v5, 1.0                                  // 00000000639C: D1010005 0001E505
	v_add_f32_e64 v6, v6, 1.0                                  // 0000000063A4: D1010006 0001E506
	v_add_f32_e64 v7, v7, 1.0                                  // 0000000063AC: D1010007 0001E507
	v_rcp_f32_e32 v4, v4                                       // 0000000063B4: 7E084504
	v_rcp_f32_e32 v5, v5                                       // 0000000063B8: 7E0A4505
	v_rcp_f32_e32 v6, v6                                       // 0000000063BC: 7E0C4506
	v_rcp_f32_e32 v7, v7                                       // 0000000063C0: 7E0E4507
	v_mul_f32_e32 v48, v48, v4                                 // 0000000063C4: 0A600930
	v_mul_f32_e32 v49, v49, v5                                 // 0000000063C8: 0A620B31
	v_mul_f32_e32 v50, v50, v6                                 // 0000000063CC: 0A640D32
	v_mul_f32_e32 v51, v51, v7                                 // 0000000063D0: 0A660F33
	v_mul_f32_e32 v48, v48, v80                                // 0000000063D4: 0A60A130
	v_mul_f32_e32 v49, v49, v81                                // 0000000063D8: 0A62A331
	v_mul_f32_e32 v50, v50, v82                                // 0000000063DC: 0A64A532
	v_mul_f32_e32 v51, v51, v83                                // 0000000063E0: 0A66A733
	v_mul_f32_e64 v4, -v52, s6                                 // 0000000063E4: D1050004 20000D34
	v_mul_f32_e64 v5, -v53, s6                                 // 0000000063EC: D1050005 20000D35
	v_mul_f32_e64 v6, -v54, s6                                 // 0000000063F4: D1050006 20000D36
	v_mul_f32_e64 v7, -v55, s6                                 // 0000000063FC: D1050007 20000D37
	v_exp_f32_e32 v4, v4                                       // 000000006404: 7E084104
	v_exp_f32_e32 v5, v5                                       // 000000006408: 7E0A4105
	v_exp_f32_e32 v6, v6                                       // 00000000640C: 7E0C4106
	v_exp_f32_e32 v7, v7                                       // 000000006410: 7E0E4107
	v_add_f32_e64 v4, v4, 1.0                                  // 000000006414: D1010004 0001E504
	v_add_f32_e64 v5, v5, 1.0                                  // 00000000641C: D1010005 0001E505
	v_add_f32_e64 v6, v6, 1.0                                  // 000000006424: D1010006 0001E506
	v_add_f32_e64 v7, v7, 1.0                                  // 00000000642C: D1010007 0001E507
	v_rcp_f32_e32 v4, v4                                       // 000000006434: 7E084504
	v_rcp_f32_e32 v5, v5                                       // 000000006438: 7E0A4505
	v_rcp_f32_e32 v6, v6                                       // 00000000643C: 7E0C4506
	v_rcp_f32_e32 v7, v7                                       // 000000006440: 7E0E4507
	v_mul_f32_e32 v52, v52, v4                                 // 000000006444: 0A680934
	v_mul_f32_e32 v53, v53, v5                                 // 000000006448: 0A6A0B35
	v_mul_f32_e32 v54, v54, v6                                 // 00000000644C: 0A6C0D36
	v_mul_f32_e32 v55, v55, v7                                 // 000000006450: 0A6E0F37
	v_mul_f32_e32 v52, v52, v84                                // 000000006454: 0A68A934
	v_mul_f32_e32 v53, v53, v85                                // 000000006458: 0A6AAB35
	v_mul_f32_e32 v54, v54, v86                                // 00000000645C: 0A6CAD36
	v_mul_f32_e32 v55, v55, v87                                // 000000006460: 0A6EAF37
	v_mul_f32_e64 v4, -v56, s6                                 // 000000006464: D1050004 20000D38
	v_mul_f32_e64 v5, -v57, s6                                 // 00000000646C: D1050005 20000D39
	v_mul_f32_e64 v6, -v58, s6                                 // 000000006474: D1050006 20000D3A
	v_mul_f32_e64 v7, -v59, s6                                 // 00000000647C: D1050007 20000D3B
	v_exp_f32_e32 v4, v4                                       // 000000006484: 7E084104
	v_exp_f32_e32 v5, v5                                       // 000000006488: 7E0A4105
	v_exp_f32_e32 v6, v6                                       // 00000000648C: 7E0C4106
	v_exp_f32_e32 v7, v7                                       // 000000006490: 7E0E4107
	v_add_f32_e64 v4, v4, 1.0                                  // 000000006494: D1010004 0001E504
	v_add_f32_e64 v5, v5, 1.0                                  // 00000000649C: D1010005 0001E505
	v_add_f32_e64 v6, v6, 1.0                                  // 0000000064A4: D1010006 0001E506
	v_add_f32_e64 v7, v7, 1.0                                  // 0000000064AC: D1010007 0001E507
	v_rcp_f32_e32 v4, v4                                       // 0000000064B4: 7E084504
	v_rcp_f32_e32 v5, v5                                       // 0000000064B8: 7E0A4505
	v_rcp_f32_e32 v6, v6                                       // 0000000064BC: 7E0C4506
	v_rcp_f32_e32 v7, v7                                       // 0000000064C0: 7E0E4507
	v_mul_f32_e32 v56, v56, v4                                 // 0000000064C4: 0A700938
	v_mul_f32_e32 v57, v57, v5                                 // 0000000064C8: 0A720B39
	v_mul_f32_e32 v58, v58, v6                                 // 0000000064CC: 0A740D3A
	v_mul_f32_e32 v59, v59, v7                                 // 0000000064D0: 0A760F3B
	v_mul_f32_e32 v56, v56, v88                                // 0000000064D4: 0A70B138
	v_mul_f32_e32 v57, v57, v89                                // 0000000064D8: 0A72B339
	v_mul_f32_e32 v58, v58, v90                                // 0000000064DC: 0A74B53A
	v_mul_f32_e32 v59, v59, v91                                // 0000000064E0: 0A76B73B
	v_mul_f32_e64 v4, -v60, s6                                 // 0000000064E4: D1050004 20000D3C
	v_mul_f32_e64 v5, -v61, s6                                 // 0000000064EC: D1050005 20000D3D
	v_mul_f32_e64 v6, -v62, s6                                 // 0000000064F4: D1050006 20000D3E
	v_mul_f32_e64 v7, -v63, s6                                 // 0000000064FC: D1050007 20000D3F
	v_exp_f32_e32 v4, v4                                       // 000000006504: 7E084104
	v_exp_f32_e32 v5, v5                                       // 000000006508: 7E0A4105
	v_exp_f32_e32 v6, v6                                       // 00000000650C: 7E0C4106
	v_exp_f32_e32 v7, v7                                       // 000000006510: 7E0E4107
	v_add_f32_e64 v4, v4, 1.0                                  // 000000006514: D1010004 0001E504
	v_add_f32_e64 v5, v5, 1.0                                  // 00000000651C: D1010005 0001E505
	v_add_f32_e64 v6, v6, 1.0                                  // 000000006524: D1010006 0001E506
	v_add_f32_e64 v7, v7, 1.0                                  // 00000000652C: D1010007 0001E507
	v_rcp_f32_e32 v4, v4                                       // 000000006534: 7E084504
	v_rcp_f32_e32 v5, v5                                       // 000000006538: 7E0A4505
	v_rcp_f32_e32 v6, v6                                       // 00000000653C: 7E0C4506
	v_rcp_f32_e32 v7, v7                                       // 000000006540: 7E0E4507
	v_mul_f32_e32 v60, v60, v4                                 // 000000006544: 0A78093C
	v_mul_f32_e32 v61, v61, v5                                 // 000000006548: 0A7A0B3D
	v_mul_f32_e32 v62, v62, v6                                 // 00000000654C: 0A7C0D3E
	v_mul_f32_e32 v63, v63, v7                                 // 000000006550: 0A7E0F3F
	v_mul_f32_e32 v60, v60, v92                                // 000000006554: 0A78B93C
	v_mul_f32_e32 v61, v61, v93                                // 000000006558: 0A7ABB3D
	v_mul_f32_e32 v62, v62, v94                                // 00000000655C: 0A7CBD3E
	v_mul_f32_e32 v63, v63, v95                                // 000000006560: 0A7EBF3F
	v_mul_f32_e64 v4, -v64, s6                                 // 000000006564: D1050004 20000D40
	v_mul_f32_e64 v5, -v65, s6                                 // 00000000656C: D1050005 20000D41
	v_mul_f32_e64 v6, -v66, s6                                 // 000000006574: D1050006 20000D42
	v_mul_f32_e64 v7, -v67, s6                                 // 00000000657C: D1050007 20000D43
	v_exp_f32_e32 v4, v4                                       // 000000006584: 7E084104
	v_exp_f32_e32 v5, v5                                       // 000000006588: 7E0A4105
	v_exp_f32_e32 v6, v6                                       // 00000000658C: 7E0C4106
	v_exp_f32_e32 v7, v7                                       // 000000006590: 7E0E4107
	v_add_f32_e64 v4, v4, 1.0                                  // 000000006594: D1010004 0001E504
	v_add_f32_e64 v5, v5, 1.0                                  // 00000000659C: D1010005 0001E505
	v_add_f32_e64 v6, v6, 1.0                                  // 0000000065A4: D1010006 0001E506
	v_add_f32_e64 v7, v7, 1.0                                  // 0000000065AC: D1010007 0001E507
	v_rcp_f32_e32 v4, v4                                       // 0000000065B4: 7E084504
	v_rcp_f32_e32 v5, v5                                       // 0000000065B8: 7E0A4505
	v_rcp_f32_e32 v6, v6                                       // 0000000065BC: 7E0C4506
	v_rcp_f32_e32 v7, v7                                       // 0000000065C0: 7E0E4507
	v_mul_f32_e32 v64, v64, v4                                 // 0000000065C4: 0A800940
	v_mul_f32_e32 v65, v65, v5                                 // 0000000065C8: 0A820B41
	v_mul_f32_e32 v66, v66, v6                                 // 0000000065CC: 0A840D42
	v_mul_f32_e32 v67, v67, v7                                 // 0000000065D0: 0A860F43
	v_mul_f32_e32 v64, v64, v96                                // 0000000065D4: 0A80C140
	v_mul_f32_e32 v65, v65, v97                                // 0000000065D8: 0A82C341
	v_mul_f32_e32 v66, v66, v98                                // 0000000065DC: 0A84C542
	v_mul_f32_e32 v67, v67, v99                                // 0000000065E0: 0A86C743
	v_mul_f32_e64 v4, -v68, s6                                 // 0000000065E4: D1050004 20000D44
	v_mul_f32_e64 v5, -v69, s6                                 // 0000000065EC: D1050005 20000D45
	v_mul_f32_e64 v6, -v70, s6                                 // 0000000065F4: D1050006 20000D46
	v_mul_f32_e64 v7, -v71, s6                                 // 0000000065FC: D1050007 20000D47
	v_exp_f32_e32 v4, v4                                       // 000000006604: 7E084104
	v_exp_f32_e32 v5, v5                                       // 000000006608: 7E0A4105
	v_exp_f32_e32 v6, v6                                       // 00000000660C: 7E0C4106
	v_exp_f32_e32 v7, v7                                       // 000000006610: 7E0E4107
	v_add_f32_e64 v4, v4, 1.0                                  // 000000006614: D1010004 0001E504
	v_add_f32_e64 v5, v5, 1.0                                  // 00000000661C: D1010005 0001E505
	v_add_f32_e64 v6, v6, 1.0                                  // 000000006624: D1010006 0001E506
	v_add_f32_e64 v7, v7, 1.0                                  // 00000000662C: D1010007 0001E507
	v_rcp_f32_e32 v4, v4                                       // 000000006634: 7E084504
	v_rcp_f32_e32 v5, v5                                       // 000000006638: 7E0A4505
	v_rcp_f32_e32 v6, v6                                       // 00000000663C: 7E0C4506
	v_rcp_f32_e32 v7, v7                                       // 000000006640: 7E0E4507
	v_mul_f32_e32 v68, v68, v4                                 // 000000006644: 0A880944
	v_mul_f32_e32 v69, v69, v5                                 // 000000006648: 0A8A0B45
	v_mul_f32_e32 v70, v70, v6                                 // 00000000664C: 0A8C0D46
	v_mul_f32_e32 v71, v71, v7                                 // 000000006650: 0A8E0F47
	v_mul_f32_e32 v68, v68, v100                               // 000000006654: 0A88C944
	v_mul_f32_e32 v69, v69, v101                               // 000000006658: 0A8ACB45
	v_mul_f32_e32 v70, v70, v102                               // 00000000665C: 0A8CCD46
	v_mul_f32_e32 v71, v71, v103                               // 000000006660: 0A8ECF47
	v_mul_f32_e64 v4, -v72, s6                                 // 000000006664: D1050004 20000D48
	v_mul_f32_e64 v5, -v73, s6                                 // 00000000666C: D1050005 20000D49
	v_mul_f32_e64 v6, -v74, s6                                 // 000000006674: D1050006 20000D4A
	v_mul_f32_e64 v7, -v75, s6                                 // 00000000667C: D1050007 20000D4B
	v_exp_f32_e32 v4, v4                                       // 000000006684: 7E084104
	v_exp_f32_e32 v5, v5                                       // 000000006688: 7E0A4105
	v_exp_f32_e32 v6, v6                                       // 00000000668C: 7E0C4106
	v_exp_f32_e32 v7, v7                                       // 000000006690: 7E0E4107
	v_add_f32_e64 v4, v4, 1.0                                  // 000000006694: D1010004 0001E504
	v_add_f32_e64 v5, v5, 1.0                                  // 00000000669C: D1010005 0001E505
	v_add_f32_e64 v6, v6, 1.0                                  // 0000000066A4: D1010006 0001E506
	v_add_f32_e64 v7, v7, 1.0                                  // 0000000066AC: D1010007 0001E507
	v_rcp_f32_e32 v4, v4                                       // 0000000066B4: 7E084504
	v_rcp_f32_e32 v5, v5                                       // 0000000066B8: 7E0A4505
	v_rcp_f32_e32 v6, v6                                       // 0000000066BC: 7E0C4506
	v_rcp_f32_e32 v7, v7                                       // 0000000066C0: 7E0E4507
	v_mul_f32_e32 v72, v72, v4                                 // 0000000066C4: 0A900948
	v_mul_f32_e32 v73, v73, v5                                 // 0000000066C8: 0A920B49
	v_mul_f32_e32 v74, v74, v6                                 // 0000000066CC: 0A940D4A
	v_mul_f32_e32 v75, v75, v7                                 // 0000000066D0: 0A960F4B
	v_mul_f32_e32 v72, v72, v104                               // 0000000066D4: 0A90D148
	v_mul_f32_e32 v73, v73, v105                               // 0000000066D8: 0A92D349
	v_mul_f32_e32 v74, v74, v106                               // 0000000066DC: 0A94D54A
	v_mul_f32_e32 v75, v75, v107                               // 0000000066E0: 0A96D74B

00000000000066e4 <label_0F3C>:
	v_cmp_u_f32_e64 s[46:47], v44, v44                         // 0000000066E4: D048002E 0002592C
	v_add3_u32 v16, v44, v19, 1                                // 0000000066EC: D1FF0010 0206272C
	v_cndmask_b32_e64 v4, v16, v18, s[46:47]                   // 0000000066F4: D1000004 00BA2510
	v_cmp_u_f32_e64 s[46:47], v45, v45                         // 0000000066FC: D048002E 00025B2D
	v_add3_u32 v16, v45, v19, 1                                // 000000006704: D1FF0010 0206272D
	v_cndmask_b32_e64 v5, v16, v18, s[46:47]                   // 00000000670C: D1000005 00BA2510
	v_perm_b32 v44, v5, v4, s52                                // 000000006714: D1ED002C 00D20905
	v_cmp_u_f32_e64 s[46:47], v46, v46                         // 00000000671C: D048002E 00025D2E
	v_add3_u32 v16, v46, v19, 1                                // 000000006724: D1FF0010 0206272E
	v_cndmask_b32_e64 v4, v16, v18, s[46:47]                   // 00000000672C: D1000004 00BA2510
	v_cmp_u_f32_e64 s[46:47], v47, v47                         // 000000006734: D048002E 00025F2F
	v_add3_u32 v16, v47, v19, 1                                // 00000000673C: D1FF0010 0206272F
	v_cndmask_b32_e64 v5, v16, v18, s[46:47]                   // 000000006744: D1000005 00BA2510
	v_perm_b32 v45, v5, v4, s52                                // 00000000674C: D1ED002D 00D20905
	v_cmp_u_f32_e64 s[46:47], v48, v48                         // 000000006754: D048002E 00026130
	v_add3_u32 v16, v48, v19, 1                                // 00000000675C: D1FF0010 02062730
	v_cndmask_b32_e64 v4, v16, v18, s[46:47]                   // 000000006764: D1000004 00BA2510
	v_cmp_u_f32_e64 s[46:47], v49, v49                         // 00000000676C: D048002E 00026331
	v_add3_u32 v16, v49, v19, 1                                // 000000006774: D1FF0010 02062731
	v_cndmask_b32_e64 v5, v16, v18, s[46:47]                   // 00000000677C: D1000005 00BA2510
	v_perm_b32 v46, v5, v4, s52                                // 000000006784: D1ED002E 00D20905
	v_cmp_u_f32_e64 s[46:47], v50, v50                         // 00000000678C: D048002E 00026532
	v_add3_u32 v16, v50, v19, 1                                // 000000006794: D1FF0010 02062732
	v_cndmask_b32_e64 v4, v16, v18, s[46:47]                   // 00000000679C: D1000004 00BA2510
	v_cmp_u_f32_e64 s[46:47], v51, v51                         // 0000000067A4: D048002E 00026733
	v_add3_u32 v16, v51, v19, 1                                // 0000000067AC: D1FF0010 02062733
	v_cndmask_b32_e64 v5, v16, v18, s[46:47]                   // 0000000067B4: D1000005 00BA2510
	v_perm_b32 v47, v5, v4, s52                                // 0000000067BC: D1ED002F 00D20905
	v_cmp_u_f32_e64 s[46:47], v52, v52                         // 0000000067C4: D048002E 00026934
	v_add3_u32 v16, v52, v19, 1                                // 0000000067CC: D1FF0010 02062734
	v_cndmask_b32_e64 v4, v16, v18, s[46:47]                   // 0000000067D4: D1000004 00BA2510
	v_cmp_u_f32_e64 s[46:47], v53, v53                         // 0000000067DC: D048002E 00026B35
	v_add3_u32 v16, v53, v19, 1                                // 0000000067E4: D1FF0010 02062735
	v_cndmask_b32_e64 v5, v16, v18, s[46:47]                   // 0000000067EC: D1000005 00BA2510
	v_perm_b32 v48, v5, v4, s52                                // 0000000067F4: D1ED0030 00D20905
	v_cmp_u_f32_e64 s[46:47], v54, v54                         // 0000000067FC: D048002E 00026D36
	v_add3_u32 v16, v54, v19, 1                                // 000000006804: D1FF0010 02062736
	v_cndmask_b32_e64 v4, v16, v18, s[46:47]                   // 00000000680C: D1000004 00BA2510
	v_cmp_u_f32_e64 s[46:47], v55, v55                         // 000000006814: D048002E 00026F37
	v_add3_u32 v16, v55, v19, 1                                // 00000000681C: D1FF0010 02062737
	v_cndmask_b32_e64 v5, v16, v18, s[46:47]                   // 000000006824: D1000005 00BA2510
	v_perm_b32 v49, v5, v4, s52                                // 00000000682C: D1ED0031 00D20905
	v_cmp_u_f32_e64 s[46:47], v56, v56                         // 000000006834: D048002E 00027138
	v_add3_u32 v16, v56, v19, 1                                // 00000000683C: D1FF0010 02062738
	v_cndmask_b32_e64 v4, v16, v18, s[46:47]                   // 000000006844: D1000004 00BA2510
	v_cmp_u_f32_e64 s[46:47], v57, v57                         // 00000000684C: D048002E 00027339
	v_add3_u32 v16, v57, v19, 1                                // 000000006854: D1FF0010 02062739
	v_cndmask_b32_e64 v5, v16, v18, s[46:47]                   // 00000000685C: D1000005 00BA2510
	v_perm_b32 v50, v5, v4, s52                                // 000000006864: D1ED0032 00D20905
	v_cmp_u_f32_e64 s[46:47], v58, v58                         // 00000000686C: D048002E 0002753A
	v_add3_u32 v16, v58, v19, 1                                // 000000006874: D1FF0010 0206273A
	v_cndmask_b32_e64 v4, v16, v18, s[46:47]                   // 00000000687C: D1000004 00BA2510
	v_cmp_u_f32_e64 s[46:47], v59, v59                         // 000000006884: D048002E 0002773B
	v_add3_u32 v16, v59, v19, 1                                // 00000000688C: D1FF0010 0206273B
	v_cndmask_b32_e64 v5, v16, v18, s[46:47]                   // 000000006894: D1000005 00BA2510
	v_perm_b32 v51, v5, v4, s52                                // 00000000689C: D1ED0033 00D20905
	v_cmp_u_f32_e64 s[46:47], v60, v60                         // 0000000068A4: D048002E 0002793C
	v_add3_u32 v16, v60, v19, 1                                // 0000000068AC: D1FF0010 0206273C
	v_cndmask_b32_e64 v4, v16, v18, s[46:47]                   // 0000000068B4: D1000004 00BA2510
	v_cmp_u_f32_e64 s[46:47], v61, v61                         // 0000000068BC: D048002E 00027B3D
	v_add3_u32 v16, v61, v19, 1                                // 0000000068C4: D1FF0010 0206273D
	v_cndmask_b32_e64 v5, v16, v18, s[46:47]                   // 0000000068CC: D1000005 00BA2510
	v_perm_b32 v52, v5, v4, s52                                // 0000000068D4: D1ED0034 00D20905
	v_cmp_u_f32_e64 s[46:47], v62, v62                         // 0000000068DC: D048002E 00027D3E
	v_add3_u32 v16, v62, v19, 1                                // 0000000068E4: D1FF0010 0206273E
	v_cndmask_b32_e64 v4, v16, v18, s[46:47]                   // 0000000068EC: D1000004 00BA2510
	v_cmp_u_f32_e64 s[46:47], v63, v63                         // 0000000068F4: D048002E 00027F3F
	v_add3_u32 v16, v63, v19, 1                                // 0000000068FC: D1FF0010 0206273F
	v_cndmask_b32_e64 v5, v16, v18, s[46:47]                   // 000000006904: D1000005 00BA2510
	v_perm_b32 v53, v5, v4, s52                                // 00000000690C: D1ED0035 00D20905
	v_cmp_u_f32_e64 s[46:47], v64, v64                         // 000000006914: D048002E 00028140
	v_add3_u32 v16, v64, v19, 1                                // 00000000691C: D1FF0010 02062740
	v_cndmask_b32_e64 v4, v16, v18, s[46:47]                   // 000000006924: D1000004 00BA2510
	v_cmp_u_f32_e64 s[46:47], v65, v65                         // 00000000692C: D048002E 00028341
	v_add3_u32 v16, v65, v19, 1                                // 000000006934: D1FF0010 02062741
	v_cndmask_b32_e64 v5, v16, v18, s[46:47]                   // 00000000693C: D1000005 00BA2510
	v_perm_b32 v54, v5, v4, s52                                // 000000006944: D1ED0036 00D20905
	v_cmp_u_f32_e64 s[46:47], v66, v66                         // 00000000694C: D048002E 00028542
	v_add3_u32 v16, v66, v19, 1                                // 000000006954: D1FF0010 02062742
	v_cndmask_b32_e64 v4, v16, v18, s[46:47]                   // 00000000695C: D1000004 00BA2510
	v_cmp_u_f32_e64 s[46:47], v67, v67                         // 000000006964: D048002E 00028743
	v_add3_u32 v16, v67, v19, 1                                // 00000000696C: D1FF0010 02062743
	v_cndmask_b32_e64 v5, v16, v18, s[46:47]                   // 000000006974: D1000005 00BA2510
	v_perm_b32 v55, v5, v4, s52                                // 00000000697C: D1ED0037 00D20905
	v_cmp_u_f32_e64 s[46:47], v68, v68                         // 000000006984: D048002E 00028944
	v_add3_u32 v16, v68, v19, 1                                // 00000000698C: D1FF0010 02062744
	v_cndmask_b32_e64 v4, v16, v18, s[46:47]                   // 000000006994: D1000004 00BA2510
	v_cmp_u_f32_e64 s[46:47], v69, v69                         // 00000000699C: D048002E 00028B45
	v_add3_u32 v16, v69, v19, 1                                // 0000000069A4: D1FF0010 02062745
	v_cndmask_b32_e64 v5, v16, v18, s[46:47]                   // 0000000069AC: D1000005 00BA2510
	v_perm_b32 v56, v5, v4, s52                                // 0000000069B4: D1ED0038 00D20905
	v_cmp_u_f32_e64 s[46:47], v70, v70                         // 0000000069BC: D048002E 00028D46
	v_add3_u32 v16, v70, v19, 1                                // 0000000069C4: D1FF0010 02062746
	v_cndmask_b32_e64 v4, v16, v18, s[46:47]                   // 0000000069CC: D1000004 00BA2510
	v_cmp_u_f32_e64 s[46:47], v71, v71                         // 0000000069D4: D048002E 00028F47
	v_add3_u32 v16, v71, v19, 1                                // 0000000069DC: D1FF0010 02062747
	v_cndmask_b32_e64 v5, v16, v18, s[46:47]                   // 0000000069E4: D1000005 00BA2510
	v_perm_b32 v57, v5, v4, s52                                // 0000000069EC: D1ED0039 00D20905
	v_cmp_u_f32_e64 s[46:47], v72, v72                         // 0000000069F4: D048002E 00029148
	v_add3_u32 v16, v72, v19, 1                                // 0000000069FC: D1FF0010 02062748
	v_cndmask_b32_e64 v4, v16, v18, s[46:47]                   // 000000006A04: D1000004 00BA2510
	v_cmp_u_f32_e64 s[46:47], v73, v73                         // 000000006A0C: D048002E 00029349
	v_add3_u32 v16, v73, v19, 1                                // 000000006A14: D1FF0010 02062749
	v_cndmask_b32_e64 v5, v16, v18, s[46:47]                   // 000000006A1C: D1000005 00BA2510
	v_perm_b32 v58, v5, v4, s52                                // 000000006A24: D1ED003A 00D20905
	v_cmp_u_f32_e64 s[46:47], v74, v74                         // 000000006A2C: D048002E 0002954A
	v_add3_u32 v16, v74, v19, 1                                // 000000006A34: D1FF0010 0206274A
	v_cndmask_b32_e64 v4, v16, v18, s[46:47]                   // 000000006A3C: D1000004 00BA2510
	v_cmp_u_f32_e64 s[46:47], v75, v75                         // 000000006A44: D048002E 0002974B
	v_add3_u32 v16, v75, v19, 1                                // 000000006A4C: D1FF0010 0206274B
	v_cndmask_b32_e64 v5, v16, v18, s[46:47]                   // 000000006A54: D1000005 00BA2510
	v_perm_b32 v59, v5, v4, s52                                // 000000006A5C: D1ED003B 00D20905
	ds_write_b64 v20, v[44:45]                                 // 000000006A64: D89A0000 00002C14
	ds_write_b64 v20, v[46:47] offset:2176                     // 000000006A6C: D89A0880 00002E14
	ds_write_b64 v20, v[48:49] offset:4352                     // 000000006A74: D89A1100 00003014
	ds_write_b64 v20, v[50:51] offset:6528                     // 000000006A7C: D89A1980 00003214
	ds_write_b64 v20, v[52:53] offset:8704                     // 000000006A84: D89A2200 00003414
	ds_write_b64 v20, v[54:55] offset:10880                    // 000000006A8C: D89A2A80 00003614
	ds_write_b64 v20, v[56:57] offset:13056                    // 000000006A94: D89A3300 00003814
	ds_write_b64 v20, v[58:59] offset:15232                    // 000000006A9C: D89A3B80 00003A14
	v_lshrrev_b32_e32 v4, 5, v0                                // 000000006AA4: 20080085
	v_xor_b32_e32 v5, 1, v4                                    // 000000006AA8: 2A0A0881
	s_mul_i32 s60, s65, 2                                      // 000000006AAC: 923C8241
	s_cmp_eq_u32 s88, 0                                        // 000000006AB0: BF068058
	s_cselect_b32 s61, 1, 4                                    // 000000006AB4: 853D8481
	s_mul_i32 s60, s61, s60                                    // 000000006AB8: 923C3C3D
	v_readlane_b32 s82, v3, 0                                  // 000000006ABC: D2890052 00010103
	s_lshr_b32 s61, s82, 24                                    // 000000006AC4: 8F3D9852
	s_and_b32 s82, s82, 0xffffff                               // 000000006AC8: 8652FF52 00FFFFFF
	s_mul_i32 s82, s82, s71                                    // 000000006AD0: 92524752
	s_mul_i32 s61, s60, s61                                    // 000000006AD4: 923D3D3C
	s_add_u32 s82, s82, s61                                    // 000000006AD8: 80523D52
	v_mul_lo_u32 v6, v5, s82                                   // 000000006ADC: D2850006 0000A505
	v_readlane_b32 s82, v3, 1                                  // 000000006AE4: D2890052 00010303
	s_lshr_b32 s61, s82, 24                                    // 000000006AEC: 8F3D9852
	s_and_b32 s82, s82, 0xffffff                               // 000000006AF0: 8652FF52 00FFFFFF
	s_mul_i32 s82, s82, s71                                    // 000000006AF8: 92524752
	s_mul_i32 s61, s60, s61                                    // 000000006AFC: 923D3D3C
	s_add_u32 s82, s82, s61                                    // 000000006B00: 80523D52
	v_mul_lo_u32 v7, v4, s82                                   // 000000006B04: D2850007 0000A504
	v_add_u32_e32 v33, v6, v7                                  // 000000006B0C: 68420F06
	v_readlane_b32 s82, v3, 2                                  // 000000006B10: D2890052 00010503
	s_lshr_b32 s61, s82, 24                                    // 000000006B18: 8F3D9852
	s_and_b32 s82, s82, 0xffffff                               // 000000006B1C: 8652FF52 00FFFFFF
	s_mul_i32 s82, s82, s71                                    // 000000006B24: 92524752
	s_mul_i32 s61, s60, s61                                    // 000000006B28: 923D3D3C
	s_add_u32 s82, s82, s61                                    // 000000006B2C: 80523D52
	v_mul_lo_u32 v6, v5, s82                                   // 000000006B30: D2850006 0000A505
	v_readlane_b32 s82, v3, 3                                  // 000000006B38: D2890052 00010703
	s_lshr_b32 s61, s82, 24                                    // 000000006B40: 8F3D9852
	s_and_b32 s82, s82, 0xffffff                               // 000000006B44: 8652FF52 00FFFFFF
	s_mul_i32 s82, s82, s71                                    // 000000006B4C: 92524752
	s_mul_i32 s61, s60, s61                                    // 000000006B50: 923D3D3C
	s_add_u32 s82, s82, s61                                    // 000000006B54: 80523D52
	v_mul_lo_u32 v7, v4, s82                                   // 000000006B58: D2850007 0000A504
	v_add_u32_e32 v34, v6, v7                                  // 000000006B60: 68440F06
	v_and_b32_e32 v4, 31, v0                                   // 000000006B64: 2608009F
	v_lshrrev_b32_e32 v4, 1, v4                                // 000000006B68: 20080881
	s_cmp_eq_u32 s88, 0                                        // 000000006B6C: BF068058
	s_cselect_b32 s61, 2, 4                                    // 000000006B70: 853D8482
	v_mul_lo_u32 v4, v4, s61                                   // 000000006B74: D2850004 00007B04
	v_and_b32_e64 v5, v0, 1                                    // 000000006B7C: D1130005 00010300
	v_add_u32_e32 v4, v4, v5                                   // 000000006B84: 68080B04
	v_lshlrev_b32_e32 v4, 2, v4                                // 000000006B88: 24080882
	v_add_u32_e32 v33, v33, v4                                 // 000000006B8C: 68420921
	v_add_u32_e32 v34, v34, v4                                 // 000000006B90: 68440922
	s_waitcnt lgkmcnt(0)                                       // 000000006B94: BF8CC07F
	s_barrier                                                  // 000000006B98: BF8A0000
	ds_read_b32 v44, v21                                       // 000000006B9C: D86C0000 2C000015
	ds_read_b32 v45, v21 offset:64                             // 000000006BA4: D86C0040 2D000015
	ds_read_b32 v46, v21 offset:2176                           // 000000006BAC: D86C0880 2E000015
	ds_read_b32 v47, v21 offset:2240                           // 000000006BB4: D86C08C0 2F000015
	ds_read_b32 v48, v21 offset:4352                           // 000000006BBC: D86C1100 30000015
	ds_read_b32 v49, v21 offset:4416                           // 000000006BC4: D86C1140 31000015
	ds_read_b32 v50, v21 offset:6528                           // 000000006BCC: D86C1980 32000015
	ds_read_b32 v51, v21 offset:6592                           // 000000006BD4: D86C19C0 33000015
	ds_read_b32 v52, v21 offset:8704                           // 000000006BDC: D86C2200 34000015
	ds_read_b32 v53, v21 offset:8768                           // 000000006BE4: D86C2240 35000015
	ds_read_b32 v54, v21 offset:10880                          // 000000006BEC: D86C2A80 36000015
	ds_read_b32 v55, v21 offset:10944                          // 000000006BF4: D86C2AC0 37000015
	ds_read_b32 v56, v21 offset:13056                          // 000000006BFC: D86C3300 38000015
	ds_read_b32 v57, v21 offset:13120                          // 000000006C04: D86C3340 39000015
	ds_read_b32 v58, v21 offset:15232                          // 000000006C0C: D86C3B80 3A000015
	ds_read_b32 v59, v21 offset:15296                          // 000000006C14: D86C3BC0 3B000015
	s_waitcnt lgkmcnt(0)                                       // 000000006C1C: BF8CC07F
	s_mov_b32 s36, -1                                          // 000000006C20: BEA400C1
	s_mov_b32 s37, -1                                          // 000000006C24: BEA500C1
	v_mov_b32_e32 v7, 0                                        // 000000006C28: 7E0E0280
	s_or_b32 s9, s9, 0x40000                                   // 000000006C2C: 8709FF09 00040000
	s_mov_b64 exec, s[36:37]                                   // 000000006C34: BEFE0124
	v_mov_b32_e32 v6, v33                                      // 000000006C38: 7E0C0321
	s_mov_b64 s[60:61], 0                                      // 000000006C3C: BEBC0180
	v_readlane_b32 s82, v3, 0                                  // 000000006C40: D2890052 00010103
	s_and_b32 s82, s82, 0xffffff                               // 000000006C48: 8652FF52 00FFFFFF
	s_cmp_lt_u32 s82, s66                                      // 000000006C50: BF0A4252
	s_cselect_b32 s20, s36, s60                                // 000000006C54: 85143C24
	v_readlane_b32 s82, v3, 1                                  // 000000006C58: D2890052 00010303
	s_and_b32 s82, s82, 0xffffff                               // 000000006C60: 8652FF52 00FFFFFF
	s_cmp_lt_u32 s82, s66                                      // 000000006C68: BF0A4252
	s_cselect_b32 s21, s36, s60                                // 000000006C6C: 85153C24
	s_mov_b64 exec, s[20:21]                                   // 000000006C70: BEFE0114
	buffer_store_dword v44, v6, s[8:11], 0 offen               // 000000006C74: E0701000 80022C06
	buffer_store_dword v46, v6, s[8:11], 0 offen offset:128    // 000000006C7C: E0701080 80022E06
	buffer_store_dword v48, v6, s[8:11], 0 offen offset:256    // 000000006C84: E0701100 80023006
	buffer_store_dword v50, v6, s[8:11], 0 offen offset:384    // 000000006C8C: E0701180 80023206
	buffer_store_dword v52, v6, s[8:11], 0 offen offset:512    // 000000006C94: E0701200 80023406
	buffer_store_dword v54, v6, s[8:11], 0 offen offset:640    // 000000006C9C: E0701280 80023606
	buffer_store_dword v56, v6, s[8:11], 0 offen offset:768    // 000000006CA4: E0701300 80023806
	buffer_store_dword v58, v6, s[8:11], 0 offen offset:896    // 000000006CAC: E0701380 80023A06
	s_mov_b64 exec, s[36:37]                                   // 000000006CB4: BEFE0124
	v_mov_b32_e32 v6, v34                                      // 000000006CB8: 7E0C0322
	s_mov_b64 s[60:61], 0                                      // 000000006CBC: BEBC0180
	v_readlane_b32 s82, v3, 2                                  // 000000006CC0: D2890052 00010503
	s_and_b32 s82, s82, 0xffffff                               // 000000006CC8: 8652FF52 00FFFFFF
	s_cmp_lt_u32 s82, s66                                      // 000000006CD0: BF0A4252
	s_cselect_b32 s20, s36, s60                                // 000000006CD4: 85143C24
	v_readlane_b32 s82, v3, 3                                  // 000000006CD8: D2890052 00010703
	s_and_b32 s82, s82, 0xffffff                               // 000000006CE0: 8652FF52 00FFFFFF
	s_cmp_lt_u32 s82, s66                                      // 000000006CE8: BF0A4252
	s_cselect_b32 s21, s36, s60                                // 000000006CEC: 85153C24
	s_mov_b64 exec, s[20:21]                                   // 000000006CF0: BEFE0114
	buffer_store_dword v45, v6, s[8:11], 0 offen               // 000000006CF4: E0701000 80022D06
	buffer_store_dword v47, v6, s[8:11], 0 offen offset:128    // 000000006CFC: E0701080 80022F06
	buffer_store_dword v49, v6, s[8:11], 0 offen offset:256    // 000000006D04: E0701100 80023106
	buffer_store_dword v51, v6, s[8:11], 0 offen offset:384    // 000000006D0C: E0701180 80023306
	buffer_store_dword v53, v6, s[8:11], 0 offen offset:512    // 000000006D14: E0701200 80023506
	buffer_store_dword v55, v6, s[8:11], 0 offen offset:640    // 000000006D1C: E0701280 80023706
	buffer_store_dword v57, v6, s[8:11], 0 offen offset:768    // 000000006D24: E0701300 80023906
	buffer_store_dword v59, v6, s[8:11], 0 offen offset:896    // 000000006D2C: E0701380 80023B06
	s_mov_b64 exec, s[36:37]                                   // 000000006D34: BEFE0124
	s_branch label_12E8                                        // 000000006D38: BF820216

0000000000006d3c <label_10D2>:
	ds_write_b64 v20, v[44:45]                                 // 000000006D3C: D89A0000 00002C14
	ds_write_b64 v20, v[48:49] offset:2176                     // 000000006D44: D89A0880 00003014
	ds_write_b64 v20, v[52:53] offset:4352                     // 000000006D4C: D89A1100 00003414
	ds_write_b64 v20, v[56:57] offset:6528                     // 000000006D54: D89A1980 00003814
	ds_write_b64 v20, v[60:61] offset:8704                     // 000000006D5C: D89A2200 00003C14
	ds_write_b64 v20, v[64:65] offset:10880                    // 000000006D64: D89A2A80 00004014
	ds_write_b64 v20, v[68:69] offset:13056                    // 000000006D6C: D89A3300 00004414
	ds_write_b64 v20, v[72:73] offset:15232                    // 000000006D74: D89A3B80 00004814
	v_lshrrev_b32_e32 v4, 5, v0                                // 000000006D7C: 20080085
	v_xor_b32_e32 v5, 1, v4                                    // 000000006D80: 2A0A0881
	s_mul_i32 s60, s65, 2                                      // 000000006D84: 923C8241
	s_cmp_eq_u32 s88, 0                                        // 000000006D88: BF068058
	s_cselect_b32 s61, 1, 4                                    // 000000006D8C: 853D8481
	s_mul_i32 s60, s61, s60                                    // 000000006D90: 923C3C3D
	v_readlane_b32 s82, v3, 0                                  // 000000006D94: D2890052 00010103
	s_lshr_b32 s61, s82, 24                                    // 000000006D9C: 8F3D9852
	s_and_b32 s82, s82, 0xffffff                               // 000000006DA0: 8652FF52 00FFFFFF
	s_mul_i32 s82, s82, s71                                    // 000000006DA8: 92524752
	s_mul_i32 s61, s60, s61                                    // 000000006DAC: 923D3D3C
	s_add_u32 s82, s82, s61                                    // 000000006DB0: 80523D52
	v_mul_lo_u32 v6, v5, s82                                   // 000000006DB4: D2850006 0000A505
	v_readlane_b32 s82, v3, 1                                  // 000000006DBC: D2890052 00010303
	s_lshr_b32 s61, s82, 24                                    // 000000006DC4: 8F3D9852
	s_and_b32 s82, s82, 0xffffff                               // 000000006DC8: 8652FF52 00FFFFFF
	s_mul_i32 s82, s82, s71                                    // 000000006DD0: 92524752
	s_mul_i32 s61, s60, s61                                    // 000000006DD4: 923D3D3C
	s_add_u32 s82, s82, s61                                    // 000000006DD8: 80523D52
	v_mul_lo_u32 v7, v4, s82                                   // 000000006DDC: D2850007 0000A504
	v_add_u32_e32 v33, v6, v7                                  // 000000006DE4: 68420F06
	v_readlane_b32 s82, v3, 2                                  // 000000006DE8: D2890052 00010503
	s_lshr_b32 s61, s82, 24                                    // 000000006DF0: 8F3D9852
	s_and_b32 s82, s82, 0xffffff                               // 000000006DF4: 8652FF52 00FFFFFF
	s_mul_i32 s82, s82, s71                                    // 000000006DFC: 92524752
	s_mul_i32 s61, s60, s61                                    // 000000006E00: 923D3D3C
	s_add_u32 s82, s82, s61                                    // 000000006E04: 80523D52
	v_mul_lo_u32 v6, v5, s82                                   // 000000006E08: D2850006 0000A505
	v_readlane_b32 s82, v3, 3                                  // 000000006E10: D2890052 00010703
	s_lshr_b32 s61, s82, 24                                    // 000000006E18: 8F3D9852
	s_and_b32 s82, s82, 0xffffff                               // 000000006E1C: 8652FF52 00FFFFFF
	s_mul_i32 s82, s82, s71                                    // 000000006E24: 92524752
	s_mul_i32 s61, s60, s61                                    // 000000006E28: 923D3D3C
	s_add_u32 s82, s82, s61                                    // 000000006E2C: 80523D52
	v_mul_lo_u32 v7, v4, s82                                   // 000000006E30: D2850007 0000A504
	v_add_u32_e32 v34, v6, v7                                  // 000000006E38: 68440F06
	v_and_b32_e32 v4, 31, v0                                   // 000000006E3C: 2608009F
	v_lshrrev_b32_e32 v4, 1, v4                                // 000000006E40: 20080881
	s_cmp_eq_u32 s88, 0                                        // 000000006E44: BF068058
	s_cselect_b32 s61, 2, 4                                    // 000000006E48: 853D8482
	v_mul_lo_u32 v4, v4, s61                                   // 000000006E4C: D2850004 00007B04
	v_and_b32_e64 v5, v0, 1                                    // 000000006E54: D1130005 00010300
	v_add_u32_e32 v4, v4, v5                                   // 000000006E5C: 68080B04
	v_lshlrev_b32_e32 v4, 2, v4                                // 000000006E60: 24080882
	v_add_u32_e32 v33, v33, v4                                 // 000000006E64: 68420921
	v_add_u32_e32 v34, v34, v4                                 // 000000006E68: 68440922
	s_waitcnt lgkmcnt(0)                                       // 000000006E6C: BF8CC07F
	s_barrier                                                  // 000000006E70: BF8A0000
	ds_read_b32 v44, v21                                       // 000000006E74: D86C0000 2C000015
	ds_read_b32 v45, v21 offset:64                             // 000000006E7C: D86C0040 2D000015
	ds_read_b32 v48, v21 offset:2176                           // 000000006E84: D86C0880 30000015
	ds_read_b32 v49, v21 offset:2240                           // 000000006E8C: D86C08C0 31000015
	ds_read_b32 v52, v21 offset:4352                           // 000000006E94: D86C1100 34000015
	ds_read_b32 v53, v21 offset:4416                           // 000000006E9C: D86C1140 35000015
	ds_read_b32 v56, v21 offset:6528                           // 000000006EA4: D86C1980 38000015
	ds_read_b32 v57, v21 offset:6592                           // 000000006EAC: D86C19C0 39000015
	ds_read_b32 v60, v21 offset:8704                           // 000000006EB4: D86C2200 3C000015
	ds_read_b32 v61, v21 offset:8768                           // 000000006EBC: D86C2240 3D000015
	ds_read_b32 v64, v21 offset:10880                          // 000000006EC4: D86C2A80 40000015
	ds_read_b32 v65, v21 offset:10944                          // 000000006ECC: D86C2AC0 41000015
	ds_read_b32 v68, v21 offset:13056                          // 000000006ED4: D86C3300 44000015
	ds_read_b32 v69, v21 offset:13120                          // 000000006EDC: D86C3340 45000015
	ds_read_b32 v72, v21 offset:15232                          // 000000006EE4: D86C3B80 48000015
	ds_read_b32 v73, v21 offset:15296                          // 000000006EEC: D86C3BC0 49000015
	s_waitcnt lgkmcnt(0)                                       // 000000006EF4: BF8CC07F
	s_mov_b32 s36, -1                                          // 000000006EF8: BEA400C1
	s_mov_b32 s37, -1                                          // 000000006EFC: BEA500C1
	v_mov_b32_e32 v7, 0                                        // 000000006F00: 7E0E0280
	s_mov_b64 exec, s[36:37]                                   // 000000006F04: BEFE0124
	v_mov_b32_e32 v6, v33                                      // 000000006F08: 7E0C0321
	s_mov_b64 s[60:61], 0                                      // 000000006F0C: BEBC0180
	v_readlane_b32 s82, v3, 0                                  // 000000006F10: D2890052 00010103
	s_and_b32 s82, s82, 0xffffff                               // 000000006F18: 8652FF52 00FFFFFF
	s_cmp_lt_u32 s82, s66                                      // 000000006F20: BF0A4252
	s_cselect_b32 s20, s36, s60                                // 000000006F24: 85143C24
	v_readlane_b32 s82, v3, 1                                  // 000000006F28: D2890052 00010303
	s_and_b32 s82, s82, 0xffffff                               // 000000006F30: 8652FF52 00FFFFFF
	s_cmp_lt_u32 s82, s66                                      // 000000006F38: BF0A4252
	s_cselect_b32 s21, s36, s60                                // 000000006F3C: 85153C24
	s_mov_b64 exec, s[20:21]                                   // 000000006F40: BEFE0114
	global_atomic_add_f32 v6, v44, s[8:9]                      // 000000006F44: DD348000 00082C06
	global_atomic_add_f32 v6, v48, s[8:9] offset:256           // 000000006F4C: DD348100 00083006
	global_atomic_add_f32 v6, v52, s[8:9] offset:512           // 000000006F54: DD348200 00083406
	global_atomic_add_f32 v6, v56, s[8:9] offset:768           // 000000006F5C: DD348300 00083806
	global_atomic_add_f32 v6, v60, s[8:9] offset:1024          // 000000006F64: DD348400 00083C06
	global_atomic_add_f32 v6, v64, s[8:9] offset:1280          // 000000006F6C: DD348500 00084006
	global_atomic_add_f32 v6, v68, s[8:9] offset:1536          // 000000006F74: DD348600 00084406
	global_atomic_add_f32 v6, v72, s[8:9] offset:1792          // 000000006F7C: DD348700 00084806
	s_mov_b64 exec, s[36:37]                                   // 000000006F84: BEFE0124
	v_mov_b32_e32 v6, v34                                      // 000000006F88: 7E0C0322
	s_mov_b64 s[60:61], 0                                      // 000000006F8C: BEBC0180
	v_readlane_b32 s82, v3, 2                                  // 000000006F90: D2890052 00010503
	s_and_b32 s82, s82, 0xffffff                               // 000000006F98: 8652FF52 00FFFFFF
	s_cmp_lt_u32 s82, s66                                      // 000000006FA0: BF0A4252
	s_cselect_b32 s20, s36, s60                                // 000000006FA4: 85143C24
	v_readlane_b32 s82, v3, 3                                  // 000000006FA8: D2890052 00010703
	s_and_b32 s82, s82, 0xffffff                               // 000000006FB0: 8652FF52 00FFFFFF
	s_cmp_lt_u32 s82, s66                                      // 000000006FB8: BF0A4252
	s_cselect_b32 s21, s36, s60                                // 000000006FBC: 85153C24
	s_mov_b64 exec, s[20:21]                                   // 000000006FC0: BEFE0114
	global_atomic_add_f32 v6, v45, s[8:9]                      // 000000006FC4: DD348000 00082D06
	global_atomic_add_f32 v6, v49, s[8:9] offset:256           // 000000006FCC: DD348100 00083106
	global_atomic_add_f32 v6, v53, s[8:9] offset:512           // 000000006FD4: DD348200 00083506
	global_atomic_add_f32 v6, v57, s[8:9] offset:768           // 000000006FDC: DD348300 00083906
	global_atomic_add_f32 v6, v61, s[8:9] offset:1024          // 000000006FE4: DD348400 00083D06
	global_atomic_add_f32 v6, v65, s[8:9] offset:1280          // 000000006FEC: DD348500 00084106
	global_atomic_add_f32 v6, v69, s[8:9] offset:1536          // 000000006FF4: DD348600 00084506
	global_atomic_add_f32 v6, v73, s[8:9] offset:1792          // 000000006FFC: DD348700 00084906
	s_mov_b64 exec, s[36:37]                                   // 000000007004: BEFE0124
	ds_write_b64 v20, v[46:47]                                 // 000000007008: D89A0000 00002E14
	ds_write_b64 v20, v[50:51] offset:2176                     // 000000007010: D89A0880 00003214
	ds_write_b64 v20, v[54:55] offset:4352                     // 000000007018: D89A1100 00003614
	ds_write_b64 v20, v[58:59] offset:6528                     // 000000007020: D89A1980 00003A14
	ds_write_b64 v20, v[62:63] offset:8704                     // 000000007028: D89A2200 00003E14
	ds_write_b64 v20, v[66:67] offset:10880                    // 000000007030: D89A2A80 00004214
	ds_write_b64 v20, v[70:71] offset:13056                    // 000000007038: D89A3300 00004614
	ds_write_b64 v20, v[74:75] offset:15232                    // 000000007040: D89A3B80 00004A14
	s_waitcnt lgkmcnt(0)                                       // 000000007048: BF8CC07F
	s_barrier                                                  // 00000000704C: BF8A0000
	ds_read_b32 v46, v21                                       // 000000007050: D86C0000 2E000015
	ds_read_b32 v47, v21 offset:64                             // 000000007058: D86C0040 2F000015
	ds_read_b32 v50, v21 offset:2176                           // 000000007060: D86C0880 32000015
	ds_read_b32 v51, v21 offset:2240                           // 000000007068: D86C08C0 33000015
	ds_read_b32 v54, v21 offset:4352                           // 000000007070: D86C1100 36000015
	ds_read_b32 v55, v21 offset:4416                           // 000000007078: D86C1140 37000015
	ds_read_b32 v58, v21 offset:6528                           // 000000007080: D86C1980 3A000015
	ds_read_b32 v59, v21 offset:6592                           // 000000007088: D86C19C0 3B000015
	ds_read_b32 v62, v21 offset:8704                           // 000000007090: D86C2200 3E000015
	ds_read_b32 v63, v21 offset:8768                           // 000000007098: D86C2240 3F000015
	ds_read_b32 v66, v21 offset:10880                          // 0000000070A0: D86C2A80 42000015
	ds_read_b32 v67, v21 offset:10944                          // 0000000070A8: D86C2AC0 43000015
	ds_read_b32 v70, v21 offset:13056                          // 0000000070B0: D86C3300 46000015
	ds_read_b32 v71, v21 offset:13120                          // 0000000070B8: D86C3340 47000015
	ds_read_b32 v74, v21 offset:15232                          // 0000000070C0: D86C3B80 4A000015
	ds_read_b32 v75, v21 offset:15296                          // 0000000070C8: D86C3BC0 4B000015
	s_waitcnt lgkmcnt(0)                                       // 0000000070D0: BF8CC07F
	v_mov_b32_e32 v7, 0                                        // 0000000070D4: 7E0E0280
	s_mov_b64 exec, s[36:37]                                   // 0000000070D8: BEFE0124
	v_mov_b32_e32 v6, v33                                      // 0000000070DC: 7E0C0321
	s_mov_b64 s[60:61], 0                                      // 0000000070E0: BEBC0180
	v_readlane_b32 s82, v3, 0                                  // 0000000070E4: D2890052 00010103
	s_and_b32 s82, s82, 0xffffff                               // 0000000070EC: 8652FF52 00FFFFFF
	s_cmp_lt_u32 s82, s66                                      // 0000000070F4: BF0A4252
	s_cselect_b32 s20, s36, s60                                // 0000000070F8: 85143C24
	v_readlane_b32 s82, v3, 1                                  // 0000000070FC: D2890052 00010303
	s_and_b32 s82, s82, 0xffffff                               // 000000007104: 8652FF52 00FFFFFF
	s_cmp_lt_u32 s82, s66                                      // 00000000710C: BF0A4252
	s_cselect_b32 s21, s36, s60                                // 000000007110: 85153C24
	s_mov_b64 exec, s[20:21]                                   // 000000007114: BEFE0114
	global_atomic_add_f32 v6, v46, s[8:9] offset:8             // 000000007118: DD348008 00082E06
	global_atomic_add_f32 v6, v50, s[8:9] offset:264           // 000000007120: DD348108 00083206
	global_atomic_add_f32 v6, v54, s[8:9] offset:520           // 000000007128: DD348208 00083606
	global_atomic_add_f32 v6, v58, s[8:9] offset:776           // 000000007130: DD348308 00083A06
	global_atomic_add_f32 v6, v62, s[8:9] offset:1032          // 000000007138: DD348408 00083E06
	global_atomic_add_f32 v6, v66, s[8:9] offset:1288          // 000000007140: DD348508 00084206
	global_atomic_add_f32 v6, v70, s[8:9] offset:1544          // 000000007148: DD348608 00084606
	global_atomic_add_f32 v6, v74, s[8:9] offset:1800          // 000000007150: DD348708 00084A06
	s_mov_b64 exec, s[36:37]                                   // 000000007158: BEFE0124
	v_mov_b32_e32 v6, v34                                      // 00000000715C: 7E0C0322
	s_mov_b64 s[60:61], 0                                      // 000000007160: BEBC0180
	v_readlane_b32 s82, v3, 2                                  // 000000007164: D2890052 00010503
	s_and_b32 s82, s82, 0xffffff                               // 00000000716C: 8652FF52 00FFFFFF
	s_cmp_lt_u32 s82, s66                                      // 000000007174: BF0A4252
	s_cselect_b32 s20, s36, s60                                // 000000007178: 85143C24
	v_readlane_b32 s82, v3, 3                                  // 00000000717C: D2890052 00010703
	s_and_b32 s82, s82, 0xffffff                               // 000000007184: 8652FF52 00FFFFFF
	s_cmp_lt_u32 s82, s66                                      // 00000000718C: BF0A4252
	s_cselect_b32 s21, s36, s60                                // 000000007190: 85153C24
	s_mov_b64 exec, s[20:21]                                   // 000000007194: BEFE0114
	global_atomic_add_f32 v6, v47, s[8:9] offset:8             // 000000007198: DD348008 00082F06
	global_atomic_add_f32 v6, v51, s[8:9] offset:264           // 0000000071A0: DD348108 00083306
	global_atomic_add_f32 v6, v55, s[8:9] offset:520           // 0000000071A8: DD348208 00083706
	global_atomic_add_f32 v6, v59, s[8:9] offset:776           // 0000000071B0: DD348308 00083B06
	global_atomic_add_f32 v6, v63, s[8:9] offset:1032          // 0000000071B8: DD348408 00083F06
	global_atomic_add_f32 v6, v67, s[8:9] offset:1288          // 0000000071C0: DD348508 00084306
	global_atomic_add_f32 v6, v71, s[8:9] offset:1544          // 0000000071C8: DD348608 00084706
	global_atomic_add_f32 v6, v75, s[8:9] offset:1800          // 0000000071D0: DD348708 00084B06
	s_mov_b64 exec, s[36:37]                                   // 0000000071D8: BEFE0124
	ds_write_b64 v20, v[76:77]                                 // 0000000071DC: D89A0000 00004C14
	ds_write_b64 v20, v[80:81] offset:2176                     // 0000000071E4: D89A0880 00005014
	ds_write_b64 v20, v[84:85] offset:4352                     // 0000000071EC: D89A1100 00005414
	ds_write_b64 v20, v[88:89] offset:6528                     // 0000000071F4: D89A1980 00005814
	ds_write_b64 v20, v[92:93] offset:8704                     // 0000000071FC: D89A2200 00005C14
	ds_write_b64 v20, v[96:97] offset:10880                    // 000000007204: D89A2A80 00006014
	ds_write_b64 v20, v[100:101] offset:13056                  // 00000000720C: D89A3300 00006414
	ds_write_b64 v20, v[104:105] offset:15232                  // 000000007214: D89A3B80 00006814
	s_waitcnt lgkmcnt(0)                                       // 00000000721C: BF8CC07F
	s_barrier                                                  // 000000007220: BF8A0000
	ds_read_b32 v76, v21                                       // 000000007224: D86C0000 4C000015
	ds_read_b32 v77, v21 offset:64                             // 00000000722C: D86C0040 4D000015
	ds_read_b32 v80, v21 offset:2176                           // 000000007234: D86C0880 50000015
	ds_read_b32 v81, v21 offset:2240                           // 00000000723C: D86C08C0 51000015
	ds_read_b32 v84, v21 offset:4352                           // 000000007244: D86C1100 54000015
	ds_read_b32 v85, v21 offset:4416                           // 00000000724C: D86C1140 55000015
	ds_read_b32 v88, v21 offset:6528                           // 000000007254: D86C1980 58000015
	ds_read_b32 v89, v21 offset:6592                           // 00000000725C: D86C19C0 59000015
	ds_read_b32 v92, v21 offset:8704                           // 000000007264: D86C2200 5C000015
	ds_read_b32 v93, v21 offset:8768                           // 00000000726C: D86C2240 5D000015
	ds_read_b32 v96, v21 offset:10880                          // 000000007274: D86C2A80 60000015
	ds_read_b32 v97, v21 offset:10944                          // 00000000727C: D86C2AC0 61000015
	ds_read_b32 v100, v21 offset:13056                         // 000000007284: D86C3300 64000015
	ds_read_b32 v101, v21 offset:13120                         // 00000000728C: D86C3340 65000015
	ds_read_b32 v104, v21 offset:15232                         // 000000007294: D86C3B80 68000015
	ds_read_b32 v105, v21 offset:15296                         // 00000000729C: D86C3BC0 69000015
	s_mul_i32 s60, s65, 4                                      // 0000000072A4: 923C8441
	s_add_u32 s8, s60, s8                                      // 0000000072A8: 8008083C
	s_addc_u32 s9, 0, s9                                       // 0000000072AC: 82090980
	s_waitcnt lgkmcnt(0)                                       // 0000000072B0: BF8CC07F
	v_mov_b32_e32 v7, 0                                        // 0000000072B4: 7E0E0280
	s_mov_b64 exec, s[36:37]                                   // 0000000072B8: BEFE0124
	v_mov_b32_e32 v6, v33                                      // 0000000072BC: 7E0C0321
	s_mov_b64 s[60:61], 0                                      // 0000000072C0: BEBC0180
	v_readlane_b32 s82, v3, 0                                  // 0000000072C4: D2890052 00010103
	s_and_b32 s82, s82, 0xffffff                               // 0000000072CC: 8652FF52 00FFFFFF
	s_cmp_lt_u32 s82, s66                                      // 0000000072D4: BF0A4252
	s_cselect_b32 s20, s36, s60                                // 0000000072D8: 85143C24
	v_readlane_b32 s82, v3, 1                                  // 0000000072DC: D2890052 00010303
	s_and_b32 s82, s82, 0xffffff                               // 0000000072E4: 8652FF52 00FFFFFF
	s_cmp_lt_u32 s82, s66                                      // 0000000072EC: BF0A4252
	s_cselect_b32 s21, s36, s60                                // 0000000072F0: 85153C24
	s_mov_b64 exec, s[20:21]                                   // 0000000072F4: BEFE0114
	global_atomic_add_f32 v6, v76, s[8:9]                      // 0000000072F8: DD348000 00084C06
	global_atomic_add_f32 v6, v80, s[8:9] offset:256           // 000000007300: DD348100 00085006
	global_atomic_add_f32 v6, v84, s[8:9] offset:512           // 000000007308: DD348200 00085406
	global_atomic_add_f32 v6, v88, s[8:9] offset:768           // 000000007310: DD348300 00085806
	global_atomic_add_f32 v6, v92, s[8:9] offset:1024          // 000000007318: DD348400 00085C06
	global_atomic_add_f32 v6, v96, s[8:9] offset:1280          // 000000007320: DD348500 00086006
	global_atomic_add_f32 v6, v100, s[8:9] offset:1536         // 000000007328: DD348600 00086406
	global_atomic_add_f32 v6, v104, s[8:9] offset:1792         // 000000007330: DD348700 00086806
	s_mov_b64 exec, s[36:37]                                   // 000000007338: BEFE0124
	v_mov_b32_e32 v6, v34                                      // 00000000733C: 7E0C0322
	s_mov_b64 s[60:61], 0                                      // 000000007340: BEBC0180
	v_readlane_b32 s82, v3, 2                                  // 000000007344: D2890052 00010503
	s_and_b32 s82, s82, 0xffffff                               // 00000000734C: 8652FF52 00FFFFFF
	s_cmp_lt_u32 s82, s66                                      // 000000007354: BF0A4252
	s_cselect_b32 s20, s36, s60                                // 000000007358: 85143C24
	v_readlane_b32 s82, v3, 3                                  // 00000000735C: D2890052 00010703
	s_and_b32 s82, s82, 0xffffff                               // 000000007364: 8652FF52 00FFFFFF
	s_cmp_lt_u32 s82, s66                                      // 00000000736C: BF0A4252
	s_cselect_b32 s21, s36, s60                                // 000000007370: 85153C24
	s_mov_b64 exec, s[20:21]                                   // 000000007374: BEFE0114
	global_atomic_add_f32 v6, v77, s[8:9]                      // 000000007378: DD348000 00084D06
	global_atomic_add_f32 v6, v81, s[8:9] offset:256           // 000000007380: DD348100 00085106
	global_atomic_add_f32 v6, v85, s[8:9] offset:512           // 000000007388: DD348200 00085506
	global_atomic_add_f32 v6, v89, s[8:9] offset:768           // 000000007390: DD348300 00085906
	global_atomic_add_f32 v6, v93, s[8:9] offset:1024          // 000000007398: DD348400 00085D06
	global_atomic_add_f32 v6, v97, s[8:9] offset:1280          // 0000000073A0: DD348500 00086106
	global_atomic_add_f32 v6, v101, s[8:9] offset:1536         // 0000000073A8: DD348600 00086506
	global_atomic_add_f32 v6, v105, s[8:9] offset:1792         // 0000000073B0: DD348700 00086906
	s_mov_b64 exec, s[36:37]                                   // 0000000073B8: BEFE0124
	ds_write_b64 v20, v[78:79]                                 // 0000000073BC: D89A0000 00004E14
	ds_write_b64 v20, v[82:83] offset:2176                     // 0000000073C4: D89A0880 00005214
	ds_write_b64 v20, v[86:87] offset:4352                     // 0000000073CC: D89A1100 00005614
	ds_write_b64 v20, v[90:91] offset:6528                     // 0000000073D4: D89A1980 00005A14
	ds_write_b64 v20, v[94:95] offset:8704                     // 0000000073DC: D89A2200 00005E14
	ds_write_b64 v20, v[98:99] offset:10880                    // 0000000073E4: D89A2A80 00006214
	ds_write_b64 v20, v[102:103] offset:13056                  // 0000000073EC: D89A3300 00006614
	ds_write_b64 v20, v[106:107] offset:15232                  // 0000000073F4: D89A3B80 00006A14
	s_waitcnt lgkmcnt(0)                                       // 0000000073FC: BF8CC07F
	s_barrier                                                  // 000000007400: BF8A0000
	ds_read_b32 v78, v21                                       // 000000007404: D86C0000 4E000015
	ds_read_b32 v79, v21 offset:64                             // 00000000740C: D86C0040 4F000015
	ds_read_b32 v82, v21 offset:2176                           // 000000007414: D86C0880 52000015
	ds_read_b32 v83, v21 offset:2240                           // 00000000741C: D86C08C0 53000015
	ds_read_b32 v86, v21 offset:4352                           // 000000007424: D86C1100 56000015
	ds_read_b32 v87, v21 offset:4416                           // 00000000742C: D86C1140 57000015
	ds_read_b32 v90, v21 offset:6528                           // 000000007434: D86C1980 5A000015
	ds_read_b32 v91, v21 offset:6592                           // 00000000743C: D86C19C0 5B000015
	ds_read_b32 v94, v21 offset:8704                           // 000000007444: D86C2200 5E000015
	ds_read_b32 v95, v21 offset:8768                           // 00000000744C: D86C2240 5F000015
	ds_read_b32 v98, v21 offset:10880                          // 000000007454: D86C2A80 62000015
	ds_read_b32 v99, v21 offset:10944                          // 00000000745C: D86C2AC0 63000015
	ds_read_b32 v102, v21 offset:13056                         // 000000007464: D86C3300 66000015
	ds_read_b32 v103, v21 offset:13120                         // 00000000746C: D86C3340 67000015
	ds_read_b32 v106, v21 offset:15232                         // 000000007474: D86C3B80 6A000015
	ds_read_b32 v107, v21 offset:15296                         // 00000000747C: D86C3BC0 6B000015
	s_waitcnt lgkmcnt(0)                                       // 000000007484: BF8CC07F
	v_mov_b32_e32 v7, 0                                        // 000000007488: 7E0E0280
	s_mov_b64 exec, s[36:37]                                   // 00000000748C: BEFE0124
	v_mov_b32_e32 v6, v33                                      // 000000007490: 7E0C0321
	s_mov_b64 s[60:61], 0                                      // 000000007494: BEBC0180
	v_readlane_b32 s82, v3, 0                                  // 000000007498: D2890052 00010103
	s_and_b32 s82, s82, 0xffffff                               // 0000000074A0: 8652FF52 00FFFFFF
	s_cmp_lt_u32 s82, s66                                      // 0000000074A8: BF0A4252
	s_cselect_b32 s20, s36, s60                                // 0000000074AC: 85143C24
	v_readlane_b32 s82, v3, 1                                  // 0000000074B0: D2890052 00010303
	s_and_b32 s82, s82, 0xffffff                               // 0000000074B8: 8652FF52 00FFFFFF
	s_cmp_lt_u32 s82, s66                                      // 0000000074C0: BF0A4252
	s_cselect_b32 s21, s36, s60                                // 0000000074C4: 85153C24
	s_mov_b64 exec, s[20:21]                                   // 0000000074C8: BEFE0114
	global_atomic_add_f32 v6, v78, s[8:9] offset:8             // 0000000074CC: DD348008 00084E06
	global_atomic_add_f32 v6, v82, s[8:9] offset:264           // 0000000074D4: DD348108 00085206
	global_atomic_add_f32 v6, v86, s[8:9] offset:520           // 0000000074DC: DD348208 00085606
	global_atomic_add_f32 v6, v90, s[8:9] offset:776           // 0000000074E4: DD348308 00085A06
	global_atomic_add_f32 v6, v94, s[8:9] offset:1032          // 0000000074EC: DD348408 00085E06
	global_atomic_add_f32 v6, v98, s[8:9] offset:1288          // 0000000074F4: DD348508 00086206
	global_atomic_add_f32 v6, v102, s[8:9] offset:1544         // 0000000074FC: DD348608 00086606
	global_atomic_add_f32 v6, v106, s[8:9] offset:1800         // 000000007504: DD348708 00086A06
	s_mov_b64 exec, s[36:37]                                   // 00000000750C: BEFE0124
	v_mov_b32_e32 v6, v34                                      // 000000007510: 7E0C0322
	s_mov_b64 s[60:61], 0                                      // 000000007514: BEBC0180
	v_readlane_b32 s82, v3, 2                                  // 000000007518: D2890052 00010503
	s_and_b32 s82, s82, 0xffffff                               // 000000007520: 8652FF52 00FFFFFF
	s_cmp_lt_u32 s82, s66                                      // 000000007528: BF0A4252
	s_cselect_b32 s20, s36, s60                                // 00000000752C: 85143C24
	v_readlane_b32 s82, v3, 3                                  // 000000007530: D2890052 00010703
	s_and_b32 s82, s82, 0xffffff                               // 000000007538: 8652FF52 00FFFFFF
	s_cmp_lt_u32 s82, s66                                      // 000000007540: BF0A4252
	s_cselect_b32 s21, s36, s60                                // 000000007544: 85153C24
	s_mov_b64 exec, s[20:21]                                   // 000000007548: BEFE0114
	global_atomic_add_f32 v6, v79, s[8:9] offset:8             // 00000000754C: DD348008 00084F06
	global_atomic_add_f32 v6, v83, s[8:9] offset:264           // 000000007554: DD348108 00085306
	global_atomic_add_f32 v6, v87, s[8:9] offset:520           // 00000000755C: DD348208 00085706
	global_atomic_add_f32 v6, v91, s[8:9] offset:776           // 000000007564: DD348308 00085B06
	global_atomic_add_f32 v6, v95, s[8:9] offset:1032          // 00000000756C: DD348408 00085F06
	global_atomic_add_f32 v6, v99, s[8:9] offset:1288          // 000000007574: DD348508 00086306
	global_atomic_add_f32 v6, v103, s[8:9] offset:1544         // 00000000757C: DD348608 00086706
	global_atomic_add_f32 v6, v107, s[8:9] offset:1800         // 000000007584: DD348708 00086B06
	s_mov_b64 exec, s[36:37]                                   // 00000000758C: BEFE0124
	s_branch label_12E8                                        // 000000007590: BF820000

0000000000007594 <label_12E8>:
	s_waitcnt vmcnt(0) expcnt(0) lgkmcnt(0)                    // 000000007594: BF8C0000
	s_endpgm                                                   // 000000007598: BF810000
